;; amdgpu-corpus repo=ROCm/rocFFT kind=compiled arch=gfx1201 opt=O3
	.text
	.amdgcn_target "amdgcn-amd-amdhsa--gfx1201"
	.amdhsa_code_object_version 6
	.protected	fft_rtc_fwd_len3600_factors_10_10_6_6_wgs_120_tpt_120_halfLds_half_ip_CI_unitstride_sbrr_R2C_dirReg ; -- Begin function fft_rtc_fwd_len3600_factors_10_10_6_6_wgs_120_tpt_120_halfLds_half_ip_CI_unitstride_sbrr_R2C_dirReg
	.globl	fft_rtc_fwd_len3600_factors_10_10_6_6_wgs_120_tpt_120_halfLds_half_ip_CI_unitstride_sbrr_R2C_dirReg
	.p2align	8
	.type	fft_rtc_fwd_len3600_factors_10_10_6_6_wgs_120_tpt_120_halfLds_half_ip_CI_unitstride_sbrr_R2C_dirReg,@function
fft_rtc_fwd_len3600_factors_10_10_6_6_wgs_120_tpt_120_halfLds_half_ip_CI_unitstride_sbrr_R2C_dirReg: ; @fft_rtc_fwd_len3600_factors_10_10_6_6_wgs_120_tpt_120_halfLds_half_ip_CI_unitstride_sbrr_R2C_dirReg
; %bb.0:
	s_clause 0x2
	s_load_b128 s[4:7], s[0:1], 0x0
	s_load_b64 s[8:9], s[0:1], 0x50
	s_load_b64 s[10:11], s[0:1], 0x18
	v_mul_u32_u24_e32 v1, 0x223, v0
	v_mov_b32_e32 v3, 0
	s_delay_alu instid0(VALU_DEP_2) | instskip(NEXT) | instid1(VALU_DEP_1)
	v_lshrrev_b32_e32 v1, 16, v1
	v_add_nc_u32_e32 v5, ttmp9, v1
	v_mov_b32_e32 v1, 0
	v_mov_b32_e32 v2, 0
	;; [unrolled: 1-line block ×3, first 2 shown]
	s_wait_kmcnt 0x0
	v_cmp_lt_u64_e64 s2, s[6:7], 2
	s_delay_alu instid0(VALU_DEP_1)
	s_and_b32 vcc_lo, exec_lo, s2
	s_cbranch_vccnz .LBB0_8
; %bb.1:
	s_load_b64 s[2:3], s[0:1], 0x10
	v_mov_b32_e32 v1, 0
	v_mov_b32_e32 v2, 0
	s_add_nc_u64 s[12:13], s[10:11], 8
	s_mov_b64 s[14:15], 1
	s_wait_kmcnt 0x0
	s_add_nc_u64 s[16:17], s[2:3], 8
	s_mov_b32 s3, 0
.LBB0_2:                                ; =>This Inner Loop Header: Depth=1
	s_load_b64 s[18:19], s[16:17], 0x0
                                        ; implicit-def: $vgpr7_vgpr8
	s_mov_b32 s2, exec_lo
	s_wait_kmcnt 0x0
	v_or_b32_e32 v4, s19, v6
	s_delay_alu instid0(VALU_DEP_1)
	v_cmpx_ne_u64_e32 0, v[3:4]
	s_wait_alu 0xfffe
	s_xor_b32 s20, exec_lo, s2
	s_cbranch_execz .LBB0_4
; %bb.3:                                ;   in Loop: Header=BB0_2 Depth=1
	s_cvt_f32_u32 s2, s18
	s_cvt_f32_u32 s21, s19
	s_sub_nc_u64 s[24:25], 0, s[18:19]
	s_wait_alu 0xfffe
	s_delay_alu instid0(SALU_CYCLE_1) | instskip(SKIP_1) | instid1(SALU_CYCLE_2)
	s_fmamk_f32 s2, s21, 0x4f800000, s2
	s_wait_alu 0xfffe
	v_s_rcp_f32 s2, s2
	s_delay_alu instid0(TRANS32_DEP_1) | instskip(SKIP_1) | instid1(SALU_CYCLE_2)
	s_mul_f32 s2, s2, 0x5f7ffffc
	s_wait_alu 0xfffe
	s_mul_f32 s21, s2, 0x2f800000
	s_wait_alu 0xfffe
	s_delay_alu instid0(SALU_CYCLE_2) | instskip(SKIP_1) | instid1(SALU_CYCLE_2)
	s_trunc_f32 s21, s21
	s_wait_alu 0xfffe
	s_fmamk_f32 s2, s21, 0xcf800000, s2
	s_cvt_u32_f32 s23, s21
	s_wait_alu 0xfffe
	s_delay_alu instid0(SALU_CYCLE_1) | instskip(SKIP_1) | instid1(SALU_CYCLE_2)
	s_cvt_u32_f32 s22, s2
	s_wait_alu 0xfffe
	s_mul_u64 s[26:27], s[24:25], s[22:23]
	s_wait_alu 0xfffe
	s_mul_hi_u32 s29, s22, s27
	s_mul_i32 s28, s22, s27
	s_mul_hi_u32 s2, s22, s26
	s_mul_i32 s30, s23, s26
	s_wait_alu 0xfffe
	s_add_nc_u64 s[28:29], s[2:3], s[28:29]
	s_mul_hi_u32 s21, s23, s26
	s_mul_hi_u32 s31, s23, s27
	s_add_co_u32 s2, s28, s30
	s_wait_alu 0xfffe
	s_add_co_ci_u32 s2, s29, s21
	s_mul_i32 s26, s23, s27
	s_add_co_ci_u32 s27, s31, 0
	s_wait_alu 0xfffe
	s_add_nc_u64 s[26:27], s[2:3], s[26:27]
	s_wait_alu 0xfffe
	v_add_co_u32 v4, s2, s22, s26
	s_delay_alu instid0(VALU_DEP_1) | instskip(SKIP_1) | instid1(VALU_DEP_1)
	s_cmp_lg_u32 s2, 0
	s_add_co_ci_u32 s23, s23, s27
	v_readfirstlane_b32 s22, v4
	s_wait_alu 0xfffe
	s_delay_alu instid0(VALU_DEP_1)
	s_mul_u64 s[24:25], s[24:25], s[22:23]
	s_wait_alu 0xfffe
	s_mul_hi_u32 s27, s22, s25
	s_mul_i32 s26, s22, s25
	s_mul_hi_u32 s2, s22, s24
	s_mul_i32 s28, s23, s24
	s_wait_alu 0xfffe
	s_add_nc_u64 s[26:27], s[2:3], s[26:27]
	s_mul_hi_u32 s21, s23, s24
	s_mul_hi_u32 s22, s23, s25
	s_wait_alu 0xfffe
	s_add_co_u32 s2, s26, s28
	s_add_co_ci_u32 s2, s27, s21
	s_mul_i32 s24, s23, s25
	s_add_co_ci_u32 s25, s22, 0
	s_wait_alu 0xfffe
	s_add_nc_u64 s[24:25], s[2:3], s[24:25]
	s_wait_alu 0xfffe
	v_add_co_u32 v4, s2, v4, s24
	s_delay_alu instid0(VALU_DEP_1) | instskip(SKIP_1) | instid1(VALU_DEP_1)
	s_cmp_lg_u32 s2, 0
	s_add_co_ci_u32 s2, s23, s25
	v_mul_hi_u32 v13, v5, v4
	s_wait_alu 0xfffe
	v_mad_co_u64_u32 v[7:8], null, v5, s2, 0
	v_mad_co_u64_u32 v[9:10], null, v6, v4, 0
	;; [unrolled: 1-line block ×3, first 2 shown]
	s_delay_alu instid0(VALU_DEP_3) | instskip(SKIP_1) | instid1(VALU_DEP_4)
	v_add_co_u32 v4, vcc_lo, v13, v7
	s_wait_alu 0xfffd
	v_add_co_ci_u32_e32 v7, vcc_lo, 0, v8, vcc_lo
	s_delay_alu instid0(VALU_DEP_2) | instskip(SKIP_1) | instid1(VALU_DEP_2)
	v_add_co_u32 v4, vcc_lo, v4, v9
	s_wait_alu 0xfffd
	v_add_co_ci_u32_e32 v4, vcc_lo, v7, v10, vcc_lo
	s_wait_alu 0xfffd
	v_add_co_ci_u32_e32 v7, vcc_lo, 0, v12, vcc_lo
	s_delay_alu instid0(VALU_DEP_2) | instskip(SKIP_1) | instid1(VALU_DEP_2)
	v_add_co_u32 v4, vcc_lo, v4, v11
	s_wait_alu 0xfffd
	v_add_co_ci_u32_e32 v9, vcc_lo, 0, v7, vcc_lo
	s_delay_alu instid0(VALU_DEP_2) | instskip(SKIP_1) | instid1(VALU_DEP_3)
	v_mul_lo_u32 v10, s19, v4
	v_mad_co_u64_u32 v[7:8], null, s18, v4, 0
	v_mul_lo_u32 v11, s18, v9
	s_delay_alu instid0(VALU_DEP_2) | instskip(NEXT) | instid1(VALU_DEP_2)
	v_sub_co_u32 v7, vcc_lo, v5, v7
	v_add3_u32 v8, v8, v11, v10
	s_delay_alu instid0(VALU_DEP_1) | instskip(SKIP_1) | instid1(VALU_DEP_1)
	v_sub_nc_u32_e32 v10, v6, v8
	s_wait_alu 0xfffd
	v_subrev_co_ci_u32_e64 v10, s2, s19, v10, vcc_lo
	v_add_co_u32 v11, s2, v4, 2
	s_wait_alu 0xf1ff
	v_add_co_ci_u32_e64 v12, s2, 0, v9, s2
	v_sub_co_u32 v13, s2, v7, s18
	v_sub_co_ci_u32_e32 v8, vcc_lo, v6, v8, vcc_lo
	s_wait_alu 0xf1ff
	v_subrev_co_ci_u32_e64 v10, s2, 0, v10, s2
	s_delay_alu instid0(VALU_DEP_3) | instskip(NEXT) | instid1(VALU_DEP_3)
	v_cmp_le_u32_e32 vcc_lo, s18, v13
	v_cmp_eq_u32_e64 s2, s19, v8
	s_wait_alu 0xfffd
	v_cndmask_b32_e64 v13, 0, -1, vcc_lo
	v_cmp_le_u32_e32 vcc_lo, s19, v10
	s_wait_alu 0xfffd
	v_cndmask_b32_e64 v14, 0, -1, vcc_lo
	v_cmp_le_u32_e32 vcc_lo, s18, v7
	;; [unrolled: 3-line block ×3, first 2 shown]
	s_wait_alu 0xfffd
	v_cndmask_b32_e64 v15, 0, -1, vcc_lo
	v_cmp_eq_u32_e32 vcc_lo, s19, v10
	s_wait_alu 0xf1ff
	s_delay_alu instid0(VALU_DEP_2)
	v_cndmask_b32_e64 v7, v15, v7, s2
	s_wait_alu 0xfffd
	v_cndmask_b32_e32 v10, v14, v13, vcc_lo
	v_add_co_u32 v13, vcc_lo, v4, 1
	s_wait_alu 0xfffd
	v_add_co_ci_u32_e32 v14, vcc_lo, 0, v9, vcc_lo
	s_delay_alu instid0(VALU_DEP_3) | instskip(SKIP_2) | instid1(VALU_DEP_3)
	v_cmp_ne_u32_e32 vcc_lo, 0, v10
	s_wait_alu 0xfffd
	v_cndmask_b32_e32 v10, v13, v11, vcc_lo
	v_cndmask_b32_e32 v8, v14, v12, vcc_lo
	v_cmp_ne_u32_e32 vcc_lo, 0, v7
	s_wait_alu 0xfffd
	s_delay_alu instid0(VALU_DEP_2)
	v_dual_cndmask_b32 v7, v4, v10 :: v_dual_cndmask_b32 v8, v9, v8
.LBB0_4:                                ;   in Loop: Header=BB0_2 Depth=1
	s_wait_alu 0xfffe
	s_and_not1_saveexec_b32 s2, s20
	s_cbranch_execz .LBB0_6
; %bb.5:                                ;   in Loop: Header=BB0_2 Depth=1
	v_cvt_f32_u32_e32 v4, s18
	s_sub_co_i32 s20, 0, s18
	s_delay_alu instid0(VALU_DEP_1) | instskip(NEXT) | instid1(TRANS32_DEP_1)
	v_rcp_iflag_f32_e32 v4, v4
	v_mul_f32_e32 v4, 0x4f7ffffe, v4
	s_delay_alu instid0(VALU_DEP_1) | instskip(SKIP_1) | instid1(VALU_DEP_1)
	v_cvt_u32_f32_e32 v4, v4
	s_wait_alu 0xfffe
	v_mul_lo_u32 v7, s20, v4
	s_delay_alu instid0(VALU_DEP_1) | instskip(NEXT) | instid1(VALU_DEP_1)
	v_mul_hi_u32 v7, v4, v7
	v_add_nc_u32_e32 v4, v4, v7
	s_delay_alu instid0(VALU_DEP_1) | instskip(NEXT) | instid1(VALU_DEP_1)
	v_mul_hi_u32 v4, v5, v4
	v_mul_lo_u32 v7, v4, s18
	v_add_nc_u32_e32 v8, 1, v4
	s_delay_alu instid0(VALU_DEP_2) | instskip(NEXT) | instid1(VALU_DEP_1)
	v_sub_nc_u32_e32 v7, v5, v7
	v_subrev_nc_u32_e32 v9, s18, v7
	v_cmp_le_u32_e32 vcc_lo, s18, v7
	s_wait_alu 0xfffd
	s_delay_alu instid0(VALU_DEP_2) | instskip(NEXT) | instid1(VALU_DEP_1)
	v_dual_cndmask_b32 v7, v7, v9 :: v_dual_cndmask_b32 v4, v4, v8
	v_cmp_le_u32_e32 vcc_lo, s18, v7
	s_delay_alu instid0(VALU_DEP_2) | instskip(SKIP_1) | instid1(VALU_DEP_1)
	v_add_nc_u32_e32 v8, 1, v4
	s_wait_alu 0xfffd
	v_dual_cndmask_b32 v7, v4, v8 :: v_dual_mov_b32 v8, v3
.LBB0_6:                                ;   in Loop: Header=BB0_2 Depth=1
	s_wait_alu 0xfffe
	s_or_b32 exec_lo, exec_lo, s2
	s_load_b64 s[20:21], s[12:13], 0x0
	s_delay_alu instid0(VALU_DEP_1)
	v_mul_lo_u32 v4, v8, s18
	v_mul_lo_u32 v11, v7, s19
	v_mad_co_u64_u32 v[9:10], null, v7, s18, 0
	s_add_nc_u64 s[14:15], s[14:15], 1
	s_add_nc_u64 s[12:13], s[12:13], 8
	s_wait_alu 0xfffe
	v_cmp_ge_u64_e64 s2, s[14:15], s[6:7]
	s_add_nc_u64 s[16:17], s[16:17], 8
	s_delay_alu instid0(VALU_DEP_2) | instskip(NEXT) | instid1(VALU_DEP_3)
	v_add3_u32 v4, v10, v11, v4
	v_sub_co_u32 v5, vcc_lo, v5, v9
	s_wait_alu 0xfffd
	s_delay_alu instid0(VALU_DEP_2) | instskip(SKIP_3) | instid1(VALU_DEP_2)
	v_sub_co_ci_u32_e32 v4, vcc_lo, v6, v4, vcc_lo
	s_and_b32 vcc_lo, exec_lo, s2
	s_wait_kmcnt 0x0
	v_mul_lo_u32 v6, s21, v5
	v_mul_lo_u32 v4, s20, v4
	v_mad_co_u64_u32 v[1:2], null, s20, v5, v[1:2]
	s_delay_alu instid0(VALU_DEP_1)
	v_add3_u32 v2, v6, v2, v4
	s_wait_alu 0xfffe
	s_cbranch_vccnz .LBB0_9
; %bb.7:                                ;   in Loop: Header=BB0_2 Depth=1
	v_dual_mov_b32 v5, v7 :: v_dual_mov_b32 v6, v8
	s_branch .LBB0_2
.LBB0_8:
	v_dual_mov_b32 v8, v6 :: v_dual_mov_b32 v7, v5
.LBB0_9:
	s_lshl_b64 s[2:3], s[6:7], 3
	v_mul_hi_u32 v3, 0x2222223, v0
	s_wait_alu 0xfffe
	s_add_nc_u64 s[2:3], s[10:11], s[2:3]
	s_load_b64 s[0:1], s[0:1], 0x20
	s_load_b64 s[2:3], s[2:3], 0x0
	s_delay_alu instid0(VALU_DEP_1) | instskip(NEXT) | instid1(VALU_DEP_1)
	v_mul_u32_u24_e32 v3, 0x78, v3
	v_sub_nc_u32_e32 v16, v0, v3
	s_delay_alu instid0(VALU_DEP_1)
	v_add_nc_u32_e32 v20, 0x78, v16
	v_add_nc_u32_e32 v24, 0xf0, v16
	;; [unrolled: 1-line block ×4, first 2 shown]
	s_wait_kmcnt 0x0
	v_cmp_gt_u64_e32 vcc_lo, s[0:1], v[7:8]
	v_mul_lo_u32 v3, s2, v8
	v_mul_lo_u32 v4, s3, v7
	v_mad_co_u64_u32 v[0:1], null, s2, v7, v[1:2]
	v_cmp_le_u64_e64 s0, s[0:1], v[7:8]
	s_delay_alu instid0(VALU_DEP_2) | instskip(NEXT) | instid1(VALU_DEP_2)
	v_add3_u32 v1, v4, v1, v3
	s_and_saveexec_b32 s1, s0
	s_wait_alu 0xfffe
	s_xor_b32 s0, exec_lo, s1
; %bb.10:
	v_add_nc_u32_e32 v20, 0x78, v16
	v_add_nc_u32_e32 v24, 0xf0, v16
	;; [unrolled: 1-line block ×4, first 2 shown]
; %bb.11:
	s_wait_alu 0xfffe
	s_or_saveexec_b32 s1, s0
	v_lshlrev_b64_e32 v[18:19], 2, v[0:1]
	s_wait_alu 0xfffe
	s_xor_b32 exec_lo, exec_lo, s1
	s_cbranch_execz .LBB0_13
; %bb.12:
	v_mov_b32_e32 v17, 0
	s_delay_alu instid0(VALU_DEP_2) | instskip(SKIP_2) | instid1(VALU_DEP_3)
	v_add_co_u32 v2, s0, s8, v18
	s_wait_alu 0xf1ff
	v_add_co_ci_u32_e64 v3, s0, s9, v19, s0
	v_lshlrev_b64_e32 v[0:1], 2, v[16:17]
	s_delay_alu instid0(VALU_DEP_1) | instskip(SKIP_1) | instid1(VALU_DEP_2)
	v_add_co_u32 v0, s0, v2, v0
	s_wait_alu 0xf1ff
	v_add_co_ci_u32_e64 v1, s0, v3, v1, s0
	s_clause 0x1d
	global_load_b32 v2, v[0:1], off
	global_load_b32 v3, v[0:1], off offset:480
	global_load_b32 v4, v[0:1], off offset:960
	;; [unrolled: 1-line block ×29, first 2 shown]
	v_lshl_add_u32 v1, v16, 2, 0
	s_delay_alu instid0(VALU_DEP_1)
	v_add_nc_u32_e32 v38, 0x200, v1
	v_add_nc_u32_e32 v39, 0x600, v1
	;; [unrolled: 1-line block ×14, first 2 shown]
	s_wait_loadcnt 0x1c
	ds_store_2addr_b32 v1, v2, v3 offset1:120
	s_wait_loadcnt 0x1a
	ds_store_2addr_b32 v38, v4, v5 offset0:112 offset1:232
	s_wait_loadcnt 0x18
	ds_store_2addr_b32 v39, v6, v7 offset0:96 offset1:216
	;; [unrolled: 2-line block ×14, first 2 shown]
.LBB0_13:
	s_or_b32 exec_lo, exec_lo, s1
	v_lshlrev_b32_e32 v17, 2, v16
	global_wb scope:SCOPE_SE
	s_wait_dscnt 0x0
	s_barrier_signal -1
	s_barrier_wait -1
	global_inv scope:SCOPE_SE
	v_add_nc_u32_e32 v43, 0, v17
	v_cmp_gt_u32_e64 s0, 0x64, v16
	s_mov_b32 s1, exec_lo
	s_delay_alu instid0(VALU_DEP_2)
	v_add_nc_u32_e32 v42, 0x1a00, v43
	v_add_nc_u32_e32 v47, 0x2400, v43
	;; [unrolled: 1-line block ×5, first 2 shown]
	ds_load_2addr_b32 v[4:5], v42 offset0:16 offset1:136
	ds_load_2addr_b32 v[2:3], v47 offset0:96 offset1:216
	;; [unrolled: 1-line block ×4, first 2 shown]
	v_add_nc_u32_e32 v48, 0x600, v43
	v_add_nc_u32_e32 v41, 0x1200, v43
	v_add_nc_u32_e32 v21, 0x1c00, v43
	ds_load_2addr_b32 v[8:9], v8 offset0:112 offset1:232
	v_add_nc_u32_e32 v40, 0x2800, v43
	v_add_nc_u32_e32 v38, 0x3400, v43
	ds_load_2addr_b32 v[36:37], v48 offset0:96 offset1:216
	ds_load_2addr_b32 v[34:35], v41 offset0:48 offset1:168
	;; [unrolled: 1-line block ×5, first 2 shown]
	s_wait_dscnt 0x9
	v_lshrrev_b32_e32 v28, 16, v4
	s_wait_dscnt 0x8
	v_add_f16_e32 v14, v4, v2
	s_wait_dscnt 0x7
	v_lshrrev_b32_e32 v15, 16, v6
	s_wait_dscnt 0x6
	v_lshrrev_b32_e32 v27, 16, v0
	v_lshrrev_b32_e32 v29, 16, v2
	v_add_f16_e32 v32, v6, v0
	v_sub_f16_e32 v30, v0, v2
	s_wait_dscnt 0x5
	v_fma_f16 v62, -0.5, v14, v8
	v_sub_f16_e32 v14, v15, v27
	v_sub_f16_e32 v49, v28, v29
	v_fma_f16 v59, -0.5, v32, v8
	v_sub_f16_e32 v31, v6, v4
	v_sub_f16_e32 v33, v2, v0
	;; [unrolled: 1-line block ×3, first 2 shown]
	v_fmamk_f16 v60, v14, 0x3b9c, v62
	v_fmac_f16_e32 v62, 0xbb9c, v14
	v_fmamk_f16 v61, v49, 0xbb9c, v59
	v_fmac_f16_e32 v59, 0x3b9c, v49
	v_lshrrev_b32_e32 v45, 16, v8
	v_add_f16_e32 v30, v31, v30
	v_add_f16_e32 v31, v44, v33
	;; [unrolled: 1-line block ×3, first 2 shown]
	v_fmac_f16_e32 v60, 0x38b4, v49
	v_fmac_f16_e32 v62, 0xb8b4, v49
	v_fmac_f16_e32 v61, 0x38b4, v14
	v_fmac_f16_e32 v59, 0xb8b4, v14
	v_add_f16_e32 v14, v15, v27
	v_sub_f16_e32 v32, v6, v0
	v_fma_f16 v44, -0.5, v33, v45
	v_fmac_f16_e32 v60, 0x34f2, v30
	v_fmac_f16_e32 v62, 0x34f2, v30
	v_sub_f16_e32 v30, v4, v2
	v_fmac_f16_e32 v45, -0.5, v14
	v_fmac_f16_e32 v61, 0x34f2, v31
	v_fmamk_f16 v63, v32, 0xbb9c, v44
	v_sub_f16_e32 v33, v15, v28
	v_sub_f16_e32 v49, v27, v29
	v_fmac_f16_e32 v44, 0x3b9c, v32
	v_fmac_f16_e32 v59, 0x34f2, v31
	v_fmamk_f16 v64, v30, 0x3b9c, v45
	s_wait_dscnt 0x1
	v_add_f16_e32 v31, v26, v13
	v_sub_f16_e32 v15, v28, v15
	v_sub_f16_e32 v27, v29, v27
	v_fmac_f16_e32 v45, 0xbb9c, v30
	v_fmac_f16_e32 v63, 0xb8b4, v30
	v_add_f16_e32 v14, v33, v49
	v_fmac_f16_e32 v44, 0x38b4, v30
	v_lshrrev_b32_e32 v33, 16, v35
	s_wait_dscnt 0x0
	v_lshrrev_b32_e32 v49, 16, v11
	v_fmac_f16_e32 v64, 0xb8b4, v32
	v_fma_f16 v54, -0.5, v31, v37
	v_lshrrev_b32_e32 v31, 16, v26
	v_lshrrev_b32_e32 v50, 16, v13
	v_add_f16_e32 v30, v35, v11
	v_add_f16_e32 v15, v15, v27
	v_fmac_f16_e32 v45, 0x38b4, v32
	v_fmac_f16_e32 v63, 0x34f2, v14
	;; [unrolled: 1-line block ×3, first 2 shown]
	v_sub_f16_e32 v14, v33, v49
	v_sub_f16_e32 v28, v31, v50
	;; [unrolled: 1-line block ×4, first 2 shown]
	v_fma_f16 v56, -0.5, v30, v37
	v_fmac_f16_e32 v64, 0x34f2, v15
	v_fmac_f16_e32 v45, 0x34f2, v15
	v_add_f16_e32 v15, v31, v50
	v_lshrrev_b32_e32 v58, 16, v37
	v_add_f16_e32 v30, v33, v49
	v_fmamk_f16 v55, v14, 0x3b9c, v54
	v_add_f16_e32 v27, v51, v29
	v_fmac_f16_e32 v54, 0xbb9c, v14
	v_fmamk_f16 v57, v28, 0xbb9c, v56
	v_sub_f16_e32 v29, v13, v11
	v_sub_f16_e32 v32, v26, v35
	v_fma_f16 v65, -0.5, v15, v58
	v_sub_f16_e32 v51, v26, v13
	v_fmac_f16_e32 v58, -0.5, v30
	v_fmac_f16_e32 v56, 0x3b9c, v28
	v_fmac_f16_e32 v55, 0x38b4, v28
	;; [unrolled: 1-line block ×3, first 2 shown]
	v_sub_f16_e32 v15, v35, v11
	v_add_f16_e32 v29, v32, v29
	v_sub_f16_e32 v28, v33, v31
	v_fmamk_f16 v67, v51, 0x3b9c, v58
	v_sub_f16_e32 v30, v31, v33
	v_sub_f16_e32 v31, v50, v49
	v_fmac_f16_e32 v56, 0xb8b4, v14
	v_fmac_f16_e32 v58, 0xbb9c, v51
	;; [unrolled: 1-line block ×3, first 2 shown]
	v_fmamk_f16 v66, v15, 0xbb9c, v65
	v_sub_f16_e32 v32, v49, v50
	v_fmac_f16_e32 v67, 0xb8b4, v15
	v_add_f16_e32 v14, v30, v31
	v_fmac_f16_e32 v56, 0x34f2, v29
	v_fmac_f16_e32 v65, 0x3b9c, v15
	v_fmac_f16_e32 v58, 0x38b4, v15
	v_fmac_f16_e32 v55, 0x34f2, v27
	v_fmac_f16_e32 v66, 0xb8b4, v51
	v_add_f16_e32 v28, v28, v32
	v_fmac_f16_e32 v54, 0x34f2, v27
	v_fmac_f16_e32 v67, 0x34f2, v14
	v_pk_add_f16 v27, v37, v35
	v_fmac_f16_e32 v65, 0x38b4, v51
	v_fmac_f16_e32 v58, 0x34f2, v14
	v_mul_f16_e32 v14, 0x34f2, v56
	v_add_nc_u32_e32 v49, 0x1600, v43
	v_add_nc_u32_e32 v35, 0x2000, v43
	;; [unrolled: 1-line block ×4, first 2 shown]
	v_fmac_f16_e32 v57, 0x34f2, v29
	v_fmac_f16_e32 v66, 0x34f2, v28
	v_pk_add_f16 v70, v27, v26
	v_fmac_f16_e32 v65, 0x34f2, v28
	v_fma_f16 v71, v58, 0x3b9c, -v14
	ds_load_2addr_b32 v[26:27], v49 offset0:32 offset1:152
	ds_load_2addr_b32 v[28:29], v35 offset0:112 offset1:232
	ds_load_2addr_b32 v[30:31], v50 offset0:80 offset1:200
	ds_load_2addr_b32 v[14:15], v37 offset0:64 offset1:184
	ds_load_2addr_b32 v[32:33], v43 offset1:120
	v_mul_f16_e32 v68, 0x3a79, v55
	v_mul_f16_e32 v69, 0x3b9c, v67
	;; [unrolled: 1-line block ×5, first 2 shown]
	v_fmac_f16_e32 v68, 0x38b4, v66
	v_fmac_f16_e32 v69, 0x34f2, v57
	v_mul_f16_e32 v57, 0x3a79, v65
	v_fma_f16 v65, v65, 0x38b4, -v72
	v_add_f16_e32 v53, v59, v71
	v_add_f16_e32 v52, v60, v68
	;; [unrolled: 1-line block ×3, first 2 shown]
	v_mul_f16_e32 v55, 0x34f2, v58
	v_fmac_f16_e32 v73, 0x3a79, v66
	v_fmac_f16_e32 v74, 0x34f2, v67
	v_sub_f16_e32 v60, v60, v68
	s_wait_dscnt 0x3
	v_add_f16_e32 v72, v27, v29
	s_wait_dscnt 0x2
	v_lshrrev_b32_e32 v75, 16, v31
	s_wait_dscnt 0x1
	v_lshrrev_b32_e32 v76, 16, v15
	v_sub_f16_e32 v61, v61, v69
	v_sub_f16_e32 v59, v59, v71
	s_wait_dscnt 0x0
	v_fma_f16 v71, -0.5, v72, v33
	v_lshrrev_b32_e32 v69, 16, v27
	v_sub_f16_e32 v68, v75, v76
	v_lshrrev_b32_e32 v72, 16, v29
	v_fma_f16 v66, v56, 0xbb9c, -v55
	v_fma_f16 v67, v54, 0xb8b4, -v57
	v_add_f16_e32 v57, v63, v73
	v_add_f16_e32 v55, v64, v74
	v_sub_f16_e32 v63, v63, v73
	v_sub_f16_e32 v64, v64, v74
	v_fmamk_f16 v73, v68, 0x3b9c, v71
	v_sub_f16_e32 v74, v69, v72
	v_sub_f16_e32 v77, v15, v29
	;; [unrolled: 1-line block ×3, first 2 shown]
	v_add_f16_e32 v79, v31, v15
	v_fmac_f16_e32 v71, 0xbb9c, v68
	v_add_f16_e32 v54, v62, v65
	v_add_f16_e32 v58, v45, v66
	v_sub_f16_e32 v62, v62, v65
	v_sub_f16_e32 v65, v45, v66
	v_fmac_f16_e32 v73, 0x38b4, v74
	v_add_f16_e32 v45, v78, v77
	v_fma_f16 v77, -0.5, v79, v33
	v_fmac_f16_e32 v71, 0xb8b4, v74
	v_add_f16_e32 v78, v69, v72
	v_lshrrev_b32_e32 v79, 16, v33
	v_fmac_f16_e32 v73, 0x34f2, v45
	v_sub_f16_e32 v80, v27, v31
	v_fmac_f16_e32 v71, 0x34f2, v45
	v_add_f16_e32 v56, v44, v67
	v_fma_f16 v45, -0.5, v78, v79
	v_sub_f16_e32 v78, v29, v15
	v_sub_f16_e32 v66, v44, v67
	v_fmamk_f16 v44, v74, 0xbb9c, v77
	v_sub_f16_e32 v67, v31, v15
	v_fmac_f16_e32 v77, 0x3b9c, v74
	v_add_f16_e32 v78, v80, v78
	v_add_f16_e32 v80, v75, v76
	v_fmac_f16_e32 v44, 0x38b4, v68
	v_fmamk_f16 v74, v67, 0xbb9c, v45
	v_sub_f16_e32 v81, v27, v29
	v_sub_f16_e32 v82, v75, v69
	;; [unrolled: 1-line block ×3, first 2 shown]
	v_fmac_f16_e32 v77, 0xb8b4, v68
	v_fmac_f16_e32 v45, 0x3b9c, v67
	v_fmac_f16_e32 v79, -0.5, v80
	v_sub_f16_e32 v69, v69, v75
	v_sub_f16_e32 v72, v72, v76
	v_add_f16_e32 v75, v25, v12
	v_lshrrev_b32_e32 v76, 16, v34
	v_lshrrev_b32_e32 v80, 16, v10
	v_fmac_f16_e32 v74, 0xb8b4, v81
	v_add_f16_e32 v68, v82, v83
	v_fmac_f16_e32 v44, 0x34f2, v78
	v_fmac_f16_e32 v77, 0x34f2, v78
	;; [unrolled: 1-line block ×3, first 2 shown]
	v_fmamk_f16 v78, v81, 0x3b9c, v79
	v_add_f16_e32 v69, v69, v72
	v_fmac_f16_e32 v79, 0xbb9c, v81
	v_fma_f16 v72, -0.5, v75, v36
	v_sub_f16_e32 v75, v76, v80
	v_lshrrev_b32_e32 v81, 16, v25
	v_lshrrev_b32_e32 v82, 16, v12
	v_fmac_f16_e32 v74, 0x34f2, v68
	v_fmac_f16_e32 v78, 0xb8b4, v67
	;; [unrolled: 1-line block ×4, first 2 shown]
	v_fmamk_f16 v67, v75, 0x3b9c, v72
	v_sub_f16_e32 v68, v81, v82
	v_sub_f16_e32 v83, v10, v12
	;; [unrolled: 1-line block ×3, first 2 shown]
	v_fmac_f16_e32 v72, 0xbb9c, v75
	v_add_f16_e32 v85, v34, v10
	v_fmac_f16_e32 v78, 0x34f2, v69
	v_fmac_f16_e32 v79, 0x34f2, v69
	;; [unrolled: 1-line block ×3, first 2 shown]
	v_add_f16_e32 v69, v84, v83
	v_fmac_f16_e32 v72, 0xb8b4, v68
	v_fma_f16 v83, -0.5, v85, v36
	v_sub_f16_e32 v84, v12, v10
	v_sub_f16_e32 v85, v25, v34
	v_pk_add_f16 v13, v70, v13
	v_fmac_f16_e32 v67, 0x34f2, v69
	v_fmac_f16_e32 v72, 0x34f2, v69
	v_fmamk_f16 v69, v68, 0xbb9c, v83
	v_add_f16_e32 v70, v85, v84
	v_fmac_f16_e32 v83, 0x3b9c, v68
	v_add_f16_e32 v68, v81, v82
	v_lshrrev_b32_e32 v84, 16, v36
	v_pk_add_f16 v11, v13, v11
	v_pk_add_f16 v13, v36, v34
	v_fmac_f16_e32 v69, 0x38b4, v75
	v_fmac_f16_e32 v83, 0xb8b4, v75
	v_fma_f16 v36, -0.5, v68, v84
	v_add_f16_e32 v68, v76, v80
	v_sub_f16_e32 v34, v34, v10
	v_sub_f16_e32 v75, v25, v12
	;; [unrolled: 1-line block ×4, first 2 shown]
	v_fmac_f16_e32 v84, -0.5, v68
	v_sub_f16_e32 v81, v82, v80
	v_pk_add_f16 v31, v33, v31
	v_sub_f16_e32 v33, v80, v82
	v_fmamk_f16 v68, v34, 0xbb9c, v36
	v_fmamk_f16 v80, v75, 0x3b9c, v84
	v_fmac_f16_e32 v84, 0xbb9c, v75
	v_fmac_f16_e32 v36, 0x3b9c, v34
	v_add_f16_e32 v76, v76, v81
	v_pk_add_f16 v81, v31, v27
	v_fmac_f16_e32 v80, 0xb8b4, v34
	v_add_f16_e32 v27, v85, v33
	v_fmac_f16_e32 v84, 0x38b4, v34
	v_fmac_f16_e32 v36, 0x38b4, v75
	;; [unrolled: 1-line block ×8, first 2 shown]
	v_pk_add_f16 v13, v13, v25
	v_fmac_f16_e32 v68, 0x34f2, v27
	v_mul_f16_e32 v70, 0x3b9c, v80
	v_mul_f16_e32 v25, 0x34f2, v83
	;; [unrolled: 1-line block ×7, first 2 shown]
	v_pk_add_f16 v12, v13, v12
	v_fmac_f16_e32 v70, 0x34f2, v69
	v_fma_f16 v75, v84, 0x3b9c, -v25
	v_mul_f16_e32 v76, 0xb8b4, v67
	v_fma_f16 v84, v36, 0x38b4, -v27
	v_fmac_f16_e32 v82, 0x34f2, v80
	v_fma_f16 v80, v83, 0xbb9c, -v33
	v_fma_f16 v83, v72, 0xb8b4, -v34
	v_add_f16_e32 v72, v26, v28
	v_lshrrev_b32_e32 v85, 16, v30
	v_lshrrev_b32_e32 v86, 16, v14
	v_fmac_f16_e32 v31, 0x38b4, v68
	v_pk_add_f16 v10, v12, v10
	v_add_f16_e32 v12, v44, v70
	v_add_f16_e32 v25, v77, v75
	v_fmac_f16_e32 v76, 0x3a79, v68
	v_add_f16_e32 v27, v71, v84
	v_sub_f16_e32 v69, v44, v70
	v_sub_f16_e32 v36, v77, v75
	;; [unrolled: 1-line block ×3, first 2 shown]
	v_fma_f16 v75, -0.5, v72, v32
	v_sub_f16_e32 v44, v85, v86
	v_lshrrev_b32_e32 v84, 16, v26
	v_lshrrev_b32_e32 v87, 16, v28
	v_add_f16_e32 v13, v73, v31
	v_add_f16_e32 v67, v74, v76
	;; [unrolled: 1-line block ×4, first 2 shown]
	v_sub_f16_e32 v31, v73, v31
	v_sub_f16_e32 v72, v74, v76
	;; [unrolled: 1-line block ×4, first 2 shown]
	v_fmamk_f16 v76, v44, 0x3b9c, v75
	v_sub_f16_e32 v78, v84, v87
	v_sub_f16_e32 v77, v14, v28
	;; [unrolled: 1-line block ×3, first 2 shown]
	v_fmac_f16_e32 v75, 0xbb9c, v44
	v_add_f16_e32 v80, v30, v14
	v_add_f16_e32 v34, v45, v83
	v_sub_f16_e32 v74, v45, v83
	v_fmac_f16_e32 v76, 0x38b4, v78
	v_add_f16_e32 v45, v79, v77
	v_fmac_f16_e32 v75, 0xb8b4, v78
	v_fma_f16 v77, -0.5, v80, v32
	v_sub_f16_e32 v79, v28, v14
	v_sub_f16_e32 v80, v26, v30
	v_fmac_f16_e32 v76, 0x34f2, v45
	v_fmac_f16_e32 v75, 0x34f2, v45
	v_pk_add_f16 v81, v81, v29
	v_fmamk_f16 v29, v78, 0xbb9c, v77
	v_add_f16_e32 v45, v80, v79
	v_pk_add_f16 v79, v32, v30
	v_lshrrev_b32_e32 v32, 16, v32
	v_add_f16_e32 v80, v84, v87
	v_sub_f16_e32 v30, v30, v14
	v_fmac_f16_e32 v77, 0x3b9c, v78
	v_pk_add_f16 v79, v79, v26
	v_fmac_f16_e32 v29, 0x38b4, v44
	v_fma_f16 v80, -0.5, v80, v32
	v_pk_add_f16 v15, v81, v15
	v_sub_f16_e32 v26, v26, v28
	v_pk_add_f16 v78, v79, v28
	v_sub_f16_e32 v28, v85, v84
	v_fmamk_f16 v79, v30, 0xbb9c, v80
	v_sub_f16_e32 v81, v86, v87
	v_fmac_f16_e32 v80, 0x3b9c, v30
	v_add_f16_e32 v83, v85, v86
	v_fmac_f16_e32 v77, 0xb8b4, v44
	v_fmac_f16_e32 v29, 0x34f2, v45
	v_fmac_f16_e32 v79, 0xb8b4, v26
	v_add_f16_e32 v28, v28, v81
	v_fmac_f16_e32 v80, 0x38b4, v26
	v_fmac_f16_e32 v32, -0.5, v83
	v_fmac_f16_e32 v77, 0x34f2, v45
	v_pk_add_f16 v14, v78, v14
	v_sub_f16_e32 v44, v84, v85
	v_sub_f16_e32 v45, v87, v86
	v_add_f16_e32 v78, v5, v3
	v_lshrrev_b32_e32 v81, 16, v7
	v_lshrrev_b32_e32 v83, 16, v1
	v_fmac_f16_e32 v79, 0x34f2, v28
	v_fmac_f16_e32 v80, 0x34f2, v28
	v_fmamk_f16 v28, v26, 0x3b9c, v32
	v_add_f16_e32 v44, v44, v45
	v_fmac_f16_e32 v32, 0xbb9c, v26
	v_fma_f16 v26, -0.5, v78, v9
	v_sub_f16_e32 v45, v81, v83
	v_lshrrev_b32_e32 v78, 16, v5
	v_lshrrev_b32_e32 v84, 16, v3
	v_fmac_f16_e32 v28, 0xb8b4, v30
	v_fmac_f16_e32 v32, 0x38b4, v30
	v_sub_f16_e32 v30, v1, v3
	v_sub_f16_e32 v85, v7, v5
	v_fmamk_f16 v86, v45, 0x3b9c, v26
	v_sub_f16_e32 v87, v78, v84
	v_fmac_f16_e32 v26, 0xbb9c, v45
	v_add_f16_e32 v88, v7, v1
	v_pk_add_f16 v6, v8, v6
	v_add_f16_e32 v30, v85, v30
	v_fmac_f16_e32 v86, 0x38b4, v87
	v_fmac_f16_e32 v26, 0xb8b4, v87
	v_fma_f16 v8, -0.5, v88, v9
	v_fmac_f16_e32 v28, 0x34f2, v44
	v_fmac_f16_e32 v32, 0x34f2, v44
	v_sub_f16_e32 v44, v3, v1
	v_sub_f16_e32 v85, v5, v7
	v_pk_add_f16 v4, v6, v4
	v_fmac_f16_e32 v86, 0x34f2, v30
	v_fmac_f16_e32 v26, 0x34f2, v30
	v_fmamk_f16 v30, v87, 0xbb9c, v8
	v_fmac_f16_e32 v8, 0x3b9c, v87
	v_add_f16_e32 v6, v85, v44
	v_pk_add_f16 v44, v9, v7
	v_lshrrev_b32_e32 v9, 16, v9
	v_pk_add_f16 v2, v4, v2
	v_add_f16_e32 v87, v78, v84
	v_add_f16_e32 v88, v81, v83
	v_fmac_f16_e32 v30, 0x38b4, v45
	v_fmac_f16_e32 v8, 0xb8b4, v45
	v_mul_i32_i24_e32 v85, 10, v24
	v_pk_add_f16 v4, v44, v5
	v_sub_f16_e32 v5, v5, v3
	v_pk_add_f16 v0, v2, v0
	v_fma_f16 v2, -0.5, v87, v9
	v_fmac_f16_e32 v9, -0.5, v88
	v_sub_f16_e32 v7, v7, v1
	v_lshl_add_u32 v44, v85, 2, 0
	v_sub_f16_e32 v85, v81, v78
	v_sub_f16_e32 v78, v78, v81
	;; [unrolled: 1-line block ×4, first 2 shown]
	v_fmac_f16_e32 v30, 0x34f2, v6
	v_fmac_f16_e32 v8, 0x34f2, v6
	v_fmamk_f16 v6, v5, 0x3b9c, v9
	v_fmac_f16_e32 v9, 0xbb9c, v5
	v_add_f16_e32 v78, v78, v83
	v_add_f16_e32 v81, v85, v81
	v_fmamk_f16 v85, v7, 0xbb9c, v2
	v_fmac_f16_e32 v6, 0xb8b4, v7
	v_fmac_f16_e32 v2, 0x3b9c, v7
	;; [unrolled: 1-line block ×3, first 2 shown]
	v_mul_f16_e32 v7, 0x34f2, v8
	v_fmac_f16_e32 v85, 0xb8b4, v5
	v_fmac_f16_e32 v6, 0x34f2, v78
	;; [unrolled: 1-line block ×4, first 2 shown]
	v_mul_f16_e32 v78, 0x3a79, v26
	v_pk_add_f16 v3, v4, v3
	v_mul_f16_e32 v5, 0x3b9c, v6
	v_fmac_f16_e32 v2, 0x34f2, v81
	v_fmac_f16_e32 v85, 0x34f2, v81
	v_mul_f16_e32 v4, 0x3a79, v86
	v_fma_f16 v7, v9, 0x3b9c, -v7
	v_fmac_f16_e32 v5, 0x34f2, v30
	v_mul_f16_e32 v86, 0xb8b4, v86
	v_mul_f16_e32 v30, 0xbb9c, v30
	v_mul_f16_e32 v9, 0x34f2, v9
	v_fma_f16 v78, v2, 0x38b4, -v78
	v_mul_f16_e32 v2, 0x3a79, v2
	v_fmac_f16_e32 v4, 0x38b4, v85
	v_fmac_f16_e32 v86, 0x3a79, v85
	;; [unrolled: 1-line block ×3, first 2 shown]
	v_fma_f16 v6, v8, 0xbb9c, -v9
	v_fma_f16 v2, v26, 0xb8b4, -v2
	v_mul_u32_u24_e32 v82, 10, v16
	v_pk_add_f16 v1, v3, v1
	v_add_f16_e32 v3, v76, v4
	v_add_f16_e32 v87, v77, v7
	;; [unrolled: 1-line block ×4, first 2 shown]
	v_sub_f16_e32 v7, v77, v7
	v_sub_f16_e32 v6, v32, v6
	v_add_f16_e32 v81, v29, v5
	v_add_f16_e32 v26, v28, v30
	;; [unrolled: 1-line block ×3, first 2 shown]
	v_sub_f16_e32 v4, v76, v4
	v_add_f16_e32 v76, v80, v2
	v_sub_f16_e32 v5, v29, v5
	v_sub_f16_e32 v29, v75, v78
	;; [unrolled: 1-line block ×5, first 2 shown]
	v_lshl_add_u32 v82, v82, 2, 0
	v_pk_add_f16 v8, v14, v1
	v_pack_b32_f16 v3, v3, v9
	v_pack_b32_f16 v6, v7, v6
	v_and_b32_e32 v7, 0xff, v16
	v_pack_b32_f16 v9, v87, v85
	v_pack_b32_f16 v26, v81, v26
	v_pk_add_f16 v1, v14, v1 neg_lo:[0,1] neg_hi:[0,1]
	v_pack_b32_f16 v14, v88, v76
	v_pack_b32_f16 v4, v4, v75
	;; [unrolled: 1-line block ×4, first 2 shown]
	global_wb scope:SCOPE_SE
	s_barrier_signal -1
	s_barrier_wait -1
	global_inv scope:SCOPE_SE
	ds_store_2addr_b32 v82, v8, v3 offset1:1
	ds_store_2addr_b32 v82, v26, v9 offset0:2 offset1:3
	ds_store_2addr_b32 v82, v14, v1 offset0:4 offset1:5
	;; [unrolled: 1-line block ×4, first 2 shown]
	v_mul_lo_u16 v2, 0xcd, v7
	v_mul_i32_i24_e32 v45, 10, v20
	v_pk_add_f16 v83, v15, v10
	v_pack_b32_f16 v1, v13, v67
	v_pack_b32_f16 v4, v12, v33
	v_lshrrev_b16 v2, 11, v2
	v_lshl_add_u32 v45, v45, 2, 0
	v_pack_b32_f16 v3, v25, v68
	v_pk_add_f16 v5, v15, v10 neg_lo:[0,1] neg_hi:[0,1]
	v_pack_b32_f16 v6, v27, v34
	v_mul_lo_u16 v12, v2, 10
	v_pack_b32_f16 v7, v31, v72
	v_pack_b32_f16 v8, v69, v73
	;; [unrolled: 1-line block ×4, first 2 shown]
	ds_store_2addr_b32 v45, v83, v1 offset1:1
	ds_store_2addr_b32 v45, v4, v3 offset0:2 offset1:3
	ds_store_2addr_b32 v45, v6, v5 offset0:4 offset1:5
	ds_store_2addr_b32 v45, v7, v8 offset0:6 offset1:7
	ds_store_2addr_b32 v45, v10, v9 offset0:8 offset1:9
	v_sub_nc_u16 v1, v16, v12
	v_pk_add_f16 v84, v0, v11
	v_pack_b32_f16 v3, v52, v57
	v_pack_b32_f16 v4, v53, v58
	;; [unrolled: 1-line block ×3, first 2 shown]
	v_and_b32_e32 v1, 0xff, v1
	v_pk_add_f16 v0, v0, v11 neg_lo:[0,1] neg_hi:[0,1]
	v_pack_b32_f16 v6, v54, v56
	v_pack_b32_f16 v7, v60, v63
	;; [unrolled: 1-line block ×5, first 2 shown]
	v_mul_u32_u24_e32 v11, 9, v1
	ds_store_2addr_b32 v44, v84, v3 offset1:1
	ds_store_2addr_b32 v44, v5, v4 offset0:2 offset1:3
	ds_store_2addr_b32 v44, v6, v0 offset0:4 offset1:5
	;; [unrolled: 1-line block ×4, first 2 shown]
	v_and_b32_e32 v0, 0xff, v20
	global_wb scope:SCOPE_SE
	s_wait_dscnt 0x0
	s_barrier_signal -1
	v_lshlrev_b32_e32 v7, 2, v11
	s_barrier_wait -1
	v_mul_lo_u16 v3, 0xcd, v0
	global_inv scope:SCOPE_SE
	v_and_b32_e32 v2, 0xffff, v2
	s_clause 0x1
	global_load_b128 v[12:15], v7, s[4:5]
	global_load_b128 v[25:28], v7, s[4:5] offset:16
	v_lshrrev_b16 v4, 11, v3
	v_lshlrev_b32_e32 v1, 2, v1
	v_mul_u32_u24_e32 v2, 0x190, v2
	s_delay_alu instid0(VALU_DEP_3) | instskip(SKIP_1) | instid1(VALU_DEP_3)
	v_mul_lo_u16 v3, v4, 10
	v_and_b32_e32 v4, 0xffff, v4
	v_add3_u32 v1, 0, v2, v1
	s_delay_alu instid0(VALU_DEP_3) | instskip(NEXT) | instid1(VALU_DEP_1)
	v_sub_nc_u16 v3, v20, v3
	v_and_b32_e32 v3, 0xff, v3
	s_delay_alu instid0(VALU_DEP_1) | instskip(SKIP_1) | instid1(VALU_DEP_2)
	v_mul_u32_u24_e32 v5, 9, v3
	v_lshlrev_b32_e32 v3, 2, v3
	v_lshlrev_b32_e32 v10, 2, v5
	s_clause 0x1
	global_load_b128 v[29:32], v10, s[4:5]
	global_load_b128 v[52:55], v10, s[4:5] offset:16
	v_and_b32_e32 v5, 0xffff, v24
	ds_load_2addr_b32 v[8:9], v50 offset0:80 offset1:200
	ds_load_2addr_b32 v[60:61], v46 offset0:64 offset1:184
	;; [unrolled: 1-line block ×4, first 2 shown]
	v_lshl_add_u32 v46, v23, 2, 0
	ds_load_2addr_b32 v[58:59], v35 offset0:112 offset1:232
	ds_load_2addr_b32 v[68:69], v47 offset0:96 offset1:216
	;; [unrolled: 1-line block ×3, first 2 shown]
	ds_load_b32 v33, v46
	ds_load_2addr_b32 v[70:71], v48 offset0:96 offset1:216
	v_mul_u32_u24_e32 v5, 0xcccd, v5
	v_mad_i32_i24 v48, 0xffffffdc, v20, v45
	v_mad_i32_i24 v47, 0xffffffdc, v24, v44
	s_clause 0x1
	global_load_b32 v78, v7, s[4:5] offset:32
	global_load_b32 v82, v10, s[4:5] offset:32
	v_lshrrev_b32_e32 v5, 19, v5
	s_delay_alu instid0(VALU_DEP_1)
	v_mul_lo_u16 v6, v5, 10
	s_wait_dscnt 0x8
	v_lshrrev_b32_e32 v10, 16, v8
	s_wait_dscnt 0x6
	v_lshrrev_b32_e32 v35, 16, v56
	v_lshrrev_b32_e32 v34, 16, v61
	s_wait_dscnt 0x5
	v_lshrrev_b32_e32 v36, 16, v63
	v_sub_nc_u16 v6, v24, v6
	s_wait_dscnt 0x4
	v_lshrrev_b32_e32 v37, 16, v58
	s_wait_dscnt 0x3
	v_lshrrev_b32_e32 v66, 16, v69
	;; [unrolled: 2-line block ×3, first 2 shown]
	v_lshrrev_b32_e32 v67, 16, v64
	v_and_b32_e32 v6, 0xffff, v6
	v_lshrrev_b32_e32 v74, 16, v9
	s_wait_dscnt 0x0
	v_lshrrev_b32_e32 v73, 16, v70
	s_delay_alu instid0(VALU_DEP_3) | instskip(NEXT) | instid1(VALU_DEP_1)
	v_mul_u32_u24_e32 v11, 9, v6
	v_lshlrev_b32_e32 v50, 2, v11
	ds_load_b32 v11, v48
	ds_load_b32 v7, v47
	ds_load_2addr_b32 v[80:81], v41 offset0:48 offset1:168
	ds_load_b32 v51, v43
	s_wait_loadcnt 0x5
	v_lshrrev_b32_e32 v41, 16, v13
	v_lshrrev_b32_e32 v42, 16, v12
	;; [unrolled: 1-line block ×4, first 2 shown]
	s_delay_alu instid0(VALU_DEP_4) | instskip(NEXT) | instid1(VALU_DEP_4)
	v_mul_f16_e32 v77, v10, v41
	v_mul_f16_e32 v49, v42, v72
	;; [unrolled: 1-line block ×5, first 2 shown]
	v_fma_f16 v84, v8, v13, -v77
	v_mul_f16_e32 v8, v35, v76
	v_fma_f16 v49, v12, v33, -v49
	v_fmac_f16_e32 v42, v12, v72
	v_mul_f16_e32 v12, v34, v75
	v_fmac_f16_e32 v83, v10, v13
	s_wait_loadcnt 0x4
	v_lshrrev_b32_e32 v10, 16, v25
	v_fma_f16 v87, v56, v15, -v8
	v_lshrrev_b32_e32 v8, 16, v26
	v_fma_f16 v61, v61, v14, -v12
	v_mul_f16_e32 v86, v56, v76
	v_fmac_f16_e32 v85, v34, v14
	v_lshrrev_b32_e32 v12, 16, v27
	v_mul_f16_e32 v13, v36, v10
	v_mul_f16_e32 v88, v63, v10
	;; [unrolled: 1-line block ×3, first 2 shown]
	v_lshrrev_b32_e32 v14, 16, v28
	v_mul_f16_e32 v89, v58, v8
	v_fmac_f16_e32 v86, v35, v15
	v_fmac_f16_e32 v88, v36, v25
	v_fma_f16 v90, v58, v26, -v10
	v_mul_f16_e32 v8, v66, v12
	v_fmac_f16_e32 v89, v37, v26
	v_mul_f16_e32 v10, v67, v14
	global_load_b128 v[34:37], v50, s[4:5]
	v_mul_f16_e32 v92, v64, v14
	v_fma_f16 v93, v69, v27, -v8
	s_wait_loadcnt 0x4
	v_lshrrev_b32_e32 v8, 16, v30
	v_fma_f16 v94, v64, v28, -v10
	v_lshrrev_b32_e32 v10, 16, v29
	v_lshrrev_b32_e32 v14, 16, v57
	;; [unrolled: 1-line block ×3, first 2 shown]
	v_mul_f16_e32 v91, v69, v12
	v_mul_f16_e32 v12, v74, v8
	;; [unrolled: 1-line block ×6, first 2 shown]
	v_fma_f16 v63, v63, v25, -v13
	v_fmac_f16_e32 v41, v73, v29
	v_mul_f16_e32 v73, v57, v15
	v_fma_f16 v76, v57, v32, -v8
	v_lshrrev_b32_e32 v8, 16, v59
	s_wait_loadcnt 0x3
	v_lshrrev_b32_e32 v15, 16, v53
	v_fmac_f16_e32 v72, v74, v30
	v_fmac_f16_e32 v73, v14, v32
	v_fma_f16 v77, v9, v30, -v12
	ds_load_2addr_b32 v[12:13], v21 offset0:128 offset1:248
	v_mul_f16_e32 v14, v8, v15
	v_mul_f16_e32 v74, v59, v15
	v_fmac_f16_e32 v91, v66, v27
	v_lshrrev_b32_e32 v27, 16, v31
	ds_load_2addr_b32 v[25:26], v40 offset0:80 offset1:200
	v_fma_f16 v79, v59, v53, -v14
	s_clause 0x1
	global_load_b128 v[56:59], v50, s[4:5] offset:16
	global_load_b32 v50, v50, s[4:5] offset:32
	s_wait_dscnt 0x3
	v_lshrrev_b32_e32 v9, 16, v80
	v_mul_f16_e32 v64, v80, v27
	v_fmac_f16_e32 v92, v67, v28
	v_lshrrev_b32_e32 v28, 16, v55
	v_fma_f16 v40, v70, v29, -v10
	v_mul_f16_e32 v27, v9, v27
	v_fmac_f16_e32 v64, v9, v31
	v_lshrrev_b32_e32 v9, 16, v65
	v_lshrrev_b32_e32 v14, 16, v52
	v_mul_f16_e32 v75, v65, v28
	v_fma_f16 v67, v80, v31, -v27
	s_wait_dscnt 0x1
	v_lshrrev_b32_e32 v15, 16, v12
	v_mul_f16_e32 v10, v9, v28
	v_lshrrev_b32_e32 v27, 16, v54
	v_mul_f16_e32 v66, v12, v14
	v_fmac_f16_e32 v74, v8, v53
	v_mul_f16_e32 v14, v15, v14
	v_fma_f16 v80, v65, v55, -v10
	s_wait_dscnt 0x0
	v_lshrrev_b32_e32 v10, 16, v25
	v_mul_f16_e32 v65, v25, v27
	v_fmac_f16_e32 v75, v9, v55
	v_fma_f16 v69, v12, v52, -v14
	v_lshrrev_b32_e32 v12, 16, v60
	v_mul_f16_e32 v8, v10, v27
	v_fmac_f16_e32 v65, v10, v54
	v_lshrrev_b32_e32 v27, 16, v71
	v_fmac_f16_e32 v66, v15, v52
	ds_load_2addr_b32 v[52:53], v39 offset0:48 offset1:168
	v_fma_f16 v70, v25, v54, -v8
	v_lshrrev_b32_e32 v25, 16, v81
	v_lshrrev_b32_e32 v39, 16, v68
	;; [unrolled: 1-line block ×3, first 2 shown]
	s_wait_dscnt 0x0
	v_lshrrev_b32_e32 v55, 16, v53
	s_wait_loadcnt 0x2
	v_lshrrev_b32_e32 v10, 16, v35
	v_lshrrev_b32_e32 v9, 16, v34
	v_lshrrev_b32_e32 v29, 16, v37
	s_delay_alu instid0(VALU_DEP_3)
	v_mul_f16_e32 v14, v12, v10
	v_mul_f16_e32 v28, v60, v10
	v_lshrrev_b32_e32 v10, 16, v36
	v_mul_f16_e32 v8, v27, v9
	v_mul_f16_e32 v9, v71, v9
	v_fma_f16 v33, v60, v35, -v14
	v_fmac_f16_e32 v28, v12, v35
	v_mul_f16_e32 v14, v25, v10
	v_mul_f16_e32 v10, v81, v10
	v_fmac_f16_e32 v9, v27, v34
	v_lshrrev_b32_e32 v35, 16, v78
	v_fma_f16 v8, v71, v34, -v8
	v_fma_f16 v15, v81, v36, -v14
	v_lshrrev_b32_e32 v14, 16, v62
	v_fmac_f16_e32 v10, v25, v36
	v_mul_f16_e32 v60, v53, v35
	s_delay_alu instid0(VALU_DEP_3) | instskip(SKIP_1) | instid1(VALU_DEP_3)
	v_mul_f16_e32 v27, v14, v29
	v_mul_f16_e32 v29, v62, v29
	v_fmac_f16_e32 v60, v55, v78
	s_delay_alu instid0(VALU_DEP_3)
	v_fma_f16 v31, v62, v37, -v27
	v_lshrrev_b32_e32 v27, 16, v13
	s_wait_loadcnt 0x1
	v_lshrrev_b32_e32 v12, 16, v56
	v_fmac_f16_e32 v29, v14, v37
	v_lshrrev_b32_e32 v25, 16, v57
	v_lshrrev_b32_e32 v32, 16, v58
	ds_load_2addr_b32 v[36:37], v38 offset0:32 offset1:152
	v_mul_f16_e32 v14, v27, v12
	v_lshrrev_b32_e32 v38, 16, v59
	v_mul_f16_e32 v30, v39, v25
	v_lshrrev_b32_e32 v62, 16, v51
	global_wb scope:SCOPE_SE
	s_wait_loadcnt_dscnt 0x0
	v_fma_f16 v14, v13, v56, -v14
	v_mul_f16_e32 v13, v13, v12
	v_mul_f16_e32 v12, v54, v32
	v_fma_f16 v34, v68, v57, -v30
	v_mul_f16_e32 v30, v68, v25
	s_barrier_signal -1
	v_fmac_f16_e32 v13, v27, v56
	v_fma_f16 v25, v26, v58, -v12
	v_mul_f16_e32 v12, v26, v32
	v_lshrrev_b32_e32 v26, 16, v52
	v_mul_f16_e32 v32, v55, v35
	v_fmac_f16_e32 v30, v39, v57
	v_add_f16_e32 v39, v87, v90
	v_fmac_f16_e32 v12, v54, v58
	v_sub_f16_e32 v54, v84, v87
	v_fma_f16 v53, v53, v78, -v32
	v_mul_f16_e32 v32, v26, v38
	v_fma_f16 v58, -0.5, v39, v51
	v_sub_f16_e32 v39, v83, v92
	v_sub_f16_e32 v55, v94, v90
	;; [unrolled: 1-line block ×3, first 2 shown]
	v_fma_f16 v35, v52, v59, -v32
	v_mul_f16_e32 v32, v52, v38
	v_lshrrev_b32_e32 v38, 16, v82
	v_lshrrev_b32_e32 v52, 16, v36
	v_fmamk_f16 v57, v39, 0x3b9c, v58
	v_fmac_f16_e32 v58, 0xbb9c, v39
	v_fmac_f16_e32 v32, v26, v59
	v_mul_f16_e32 v68, v36, v38
	v_mul_f16_e32 v38, v52, v38
	v_lshrrev_b32_e32 v78, 16, v11
	s_barrier_wait -1
	global_inv scope:SCOPE_SE
	v_fmac_f16_e32 v68, v52, v82
	v_fma_f16 v71, v36, v82, -v38
	v_lshrrev_b32_e32 v36, 16, v37
	v_lshrrev_b32_e32 v38, 16, v50
	v_add_f16_e32 v52, v51, v84
	s_delay_alu instid0(VALU_DEP_2) | instskip(SKIP_2) | instid1(VALU_DEP_3)
	v_mul_f16_e32 v27, v36, v38
	v_mul_f16_e32 v26, v37, v38
	v_sub_f16_e32 v38, v86, v89
	v_fma_f16 v27, v37, v50, -v27
	v_add_f16_e32 v37, v52, v87
	v_add_f16_e32 v52, v54, v55
	;; [unrolled: 1-line block ×3, first 2 shown]
	v_fmac_f16_e32 v57, 0x38b4, v38
	v_fmac_f16_e32 v58, 0xb8b4, v38
	v_add_f16_e32 v37, v37, v90
	v_fmac_f16_e32 v26, v36, v50
	v_fmac_f16_e32 v51, -0.5, v54
	v_fmac_f16_e32 v57, 0x34f2, v52
	v_fmac_f16_e32 v58, 0x34f2, v52
	v_add_f16_e32 v50, v37, v94
	v_add_f16_e32 v36, v86, v89
	v_fmamk_f16 v59, v38, 0xbb9c, v51
	v_sub_f16_e32 v37, v87, v84
	v_sub_f16_e32 v52, v90, v94
	v_add_f16_e32 v55, v62, v83
	v_fmac_f16_e32 v51, 0x3b9c, v38
	v_fma_f16 v81, -0.5, v36, v62
	v_fmac_f16_e32 v59, 0x38b4, v39
	v_add_f16_e32 v36, v37, v52
	v_add_f16_e32 v37, v55, v86
	v_fmac_f16_e32 v51, 0xb8b4, v39
	v_add_f16_e32 v39, v83, v92
	v_sub_f16_e32 v54, v84, v94
	v_sub_f16_e32 v38, v87, v90
	v_add_f16_e32 v37, v37, v89
	v_fmac_f16_e32 v59, 0x34f2, v36
	v_fmac_f16_e32 v62, -0.5, v39
	v_fmamk_f16 v82, v54, 0xbb9c, v81
	v_fmac_f16_e32 v51, 0x34f2, v36
	v_add_f16_e32 v84, v37, v92
	v_fmac_f16_e32 v81, 0x3b9c, v54
	v_fmamk_f16 v87, v38, 0x3b9c, v62
	v_sub_f16_e32 v36, v86, v83
	v_sub_f16_e32 v37, v89, v92
	v_fmac_f16_e32 v62, 0xbb9c, v38
	v_add_f16_e32 v39, v49, v61
	v_sub_f16_e32 v52, v83, v86
	v_sub_f16_e32 v55, v92, v89
	v_fmac_f16_e32 v82, 0xb8b4, v38
	v_fmac_f16_e32 v81, 0x38b4, v38
	;; [unrolled: 1-line block ×3, first 2 shown]
	v_add_f16_e32 v36, v36, v37
	v_fmac_f16_e32 v62, 0x38b4, v54
	v_add_f16_e32 v37, v39, v63
	v_add_f16_e32 v38, v63, v93
	;; [unrolled: 1-line block ×3, first 2 shown]
	v_fmac_f16_e32 v87, 0x34f2, v36
	v_fmac_f16_e32 v62, 0x34f2, v36
	v_add_f16_e32 v36, v37, v93
	v_fma_f16 v54, -0.5, v38, v49
	v_add_f16_e32 v37, v61, v53
	v_sub_f16_e32 v38, v85, v60
	v_fmac_f16_e32 v82, 0x34f2, v52
	v_fmac_f16_e32 v81, 0x34f2, v52
	v_sub_f16_e32 v39, v88, v91
	v_sub_f16_e32 v52, v61, v63
	;; [unrolled: 1-line block ×3, first 2 shown]
	v_fmac_f16_e32 v49, -0.5, v37
	v_sub_f16_e32 v37, v63, v61
	v_fmamk_f16 v83, v38, 0x3b9c, v54
	v_fmac_f16_e32 v54, 0xbb9c, v38
	v_add_f16_e32 v52, v52, v55
	v_fmamk_f16 v55, v39, 0xbb9c, v49
	v_add_f16_e32 v37, v37, v56
	v_fmac_f16_e32 v83, 0x38b4, v39
	v_fmac_f16_e32 v54, 0xb8b4, v39
	v_add_f16_e32 v56, v36, v53
	v_fmac_f16_e32 v49, 0x3b9c, v39
	v_add_f16_e32 v36, v88, v91
	v_fmac_f16_e32 v55, 0x38b4, v38
	v_fmac_f16_e32 v83, 0x34f2, v52
	;; [unrolled: 1-line block ×4, first 2 shown]
	v_add_f16_e32 v39, v85, v60
	v_fma_f16 v52, -0.5, v36, v42
	v_sub_f16_e32 v36, v61, v53
	v_fmac_f16_e32 v55, 0x34f2, v37
	v_add_f16_e32 v38, v42, v85
	v_fmac_f16_e32 v49, 0x34f2, v37
	v_sub_f16_e32 v37, v63, v93
	v_fmac_f16_e32 v42, -0.5, v39
	v_fmamk_f16 v53, v36, 0xbb9c, v52
	v_sub_f16_e32 v39, v85, v88
	v_sub_f16_e32 v61, v60, v91
	;; [unrolled: 1-line block ×3, first 2 shown]
	v_fmamk_f16 v63, v37, 0x3b9c, v42
	v_fmac_f16_e32 v53, 0xb8b4, v37
	v_sub_f16_e32 v86, v91, v60
	v_add_f16_e32 v39, v39, v61
	v_fmac_f16_e32 v42, 0xbb9c, v37
	v_fmac_f16_e32 v52, 0x3b9c, v36
	;; [unrolled: 1-line block ×3, first 2 shown]
	v_add_f16_e32 v61, v85, v86
	v_fmac_f16_e32 v53, 0x34f2, v39
	v_fmac_f16_e32 v42, 0x38b4, v36
	v_add_f16_e32 v38, v38, v88
	v_fmac_f16_e32 v52, 0x38b4, v37
	v_fmac_f16_e32 v63, 0x34f2, v61
	v_mul_f16_e32 v85, 0x38b4, v53
	v_fmac_f16_e32 v42, 0x34f2, v61
	v_mul_f16_e32 v37, 0x34f2, v49
	v_add_f16_e32 v38, v38, v91
	v_fmac_f16_e32 v52, 0x34f2, v39
	v_fmac_f16_e32 v85, 0x3a79, v83
	v_mul_f16_e32 v83, 0xb8b4, v83
	v_mul_f16_e32 v86, 0x3b9c, v63
	;; [unrolled: 1-line block ×3, first 2 shown]
	v_fma_f16 v61, v42, 0x3b9c, -v37
	v_add_f16_e32 v60, v38, v60
	v_fmac_f16_e32 v83, 0x3a79, v53
	v_mul_f16_e32 v53, 0x34f2, v42
	v_fmac_f16_e32 v86, 0x34f2, v55
	v_add_f16_e32 v37, v57, v85
	v_fma_f16 v88, v52, 0x38b4, -v39
	v_add_f16_e32 v39, v51, v61
	v_mul_f16_e32 v89, 0xbb9c, v55
	v_mul_f16_e32 v55, 0x3a79, v52
	v_fma_f16 v90, v49, 0xbb9c, -v53
	v_sub_f16_e32 v49, v57, v85
	v_sub_f16_e32 v51, v51, v61
	v_add_f16_e32 v61, v11, v77
	v_add_f16_e32 v85, v76, v79
	;; [unrolled: 1-line block ×4, first 2 shown]
	v_fmac_f16_e32 v89, 0x34f2, v63
	v_add_f16_e32 v52, v84, v60
	v_add_f16_e32 v53, v82, v83
	v_fma_f16 v91, v54, 0xb8b4, -v55
	v_sub_f16_e32 v55, v50, v56
	v_sub_f16_e32 v50, v59, v86
	v_sub_f16_e32 v63, v84, v60
	v_sub_f16_e32 v59, v82, v83
	v_add_f16_e32 v82, v61, v76
	v_fma_f16 v83, -0.5, v85, v11
	v_sub_f16_e32 v84, v72, v75
	v_add_f16_e32 v85, v77, v80
	v_add_f16_e32 v42, v58, v88
	;; [unrolled: 1-line block ×5, first 2 shown]
	v_sub_f16_e32 v58, v58, v88
	v_sub_f16_e32 v60, v87, v89
	;; [unrolled: 1-line block ×4, first 2 shown]
	v_add_f16_e32 v81, v82, v79
	v_fmamk_f16 v82, v84, 0x3b9c, v83
	v_sub_f16_e32 v86, v73, v74
	v_sub_f16_e32 v87, v77, v76
	;; [unrolled: 1-line block ×3, first 2 shown]
	v_fmac_f16_e32 v83, 0xbb9c, v84
	v_fmac_f16_e32 v11, -0.5, v85
	v_fmac_f16_e32 v82, 0x38b4, v86
	v_add_f16_e32 v81, v81, v80
	v_add_f16_e32 v85, v87, v88
	v_fmac_f16_e32 v83, 0xb8b4, v86
	v_fmamk_f16 v87, v86, 0xbb9c, v11
	v_sub_f16_e32 v88, v76, v77
	v_fmac_f16_e32 v11, 0x3b9c, v86
	v_sub_f16_e32 v86, v79, v80
	v_sub_f16_e32 v77, v77, v80
	v_sub_f16_e32 v80, v72, v73
	v_fmac_f16_e32 v82, 0x34f2, v85
	v_fmac_f16_e32 v83, 0x34f2, v85
	v_add_f16_e32 v86, v88, v86
	v_sub_f16_e32 v88, v75, v74
	v_add_f16_e32 v85, v73, v74
	v_fmac_f16_e32 v87, 0x38b4, v84
	v_fmac_f16_e32 v11, 0xb8b4, v84
	v_add_f16_e32 v84, v78, v72
	v_add_f16_e32 v80, v80, v88
	;; [unrolled: 1-line block ×3, first 2 shown]
	v_fma_f16 v85, -0.5, v85, v78
	v_sub_f16_e32 v76, v76, v79
	v_add_f16_e32 v84, v84, v73
	v_fmac_f16_e32 v87, 0x34f2, v86
	v_fmac_f16_e32 v78, -0.5, v88
	v_fmamk_f16 v79, v77, 0xbb9c, v85
	v_fmac_f16_e32 v11, 0x34f2, v86
	v_add_f16_e32 v84, v84, v74
	v_fmac_f16_e32 v85, 0x3b9c, v77
	v_fmamk_f16 v86, v76, 0x3b9c, v78
	v_sub_f16_e32 v72, v73, v72
	v_sub_f16_e32 v73, v74, v75
	v_fmac_f16_e32 v78, 0xbb9c, v76
	v_add_f16_e32 v74, v69, v70
	v_fmac_f16_e32 v79, 0xb8b4, v76
	v_add_f16_e32 v84, v84, v75
	v_fmac_f16_e32 v85, 0x38b4, v76
	v_fmac_f16_e32 v86, 0xb8b4, v77
	v_add_f16_e32 v72, v72, v73
	v_fmac_f16_e32 v78, 0x38b4, v77
	v_add_f16_e32 v73, v40, v67
	v_fma_f16 v74, -0.5, v74, v40
	v_sub_f16_e32 v75, v64, v68
	v_add_f16_e32 v76, v67, v71
	v_fmac_f16_e32 v79, 0x34f2, v80
	v_fmac_f16_e32 v85, 0x34f2, v80
	;; [unrolled: 1-line block ×4, first 2 shown]
	v_add_f16_e32 v72, v73, v69
	v_fmamk_f16 v73, v75, 0x3b9c, v74
	v_sub_f16_e32 v77, v66, v65
	v_sub_f16_e32 v80, v67, v69
	v_sub_f16_e32 v88, v71, v70
	v_fmac_f16_e32 v74, 0xbb9c, v75
	v_fmac_f16_e32 v40, -0.5, v76
	v_add_f16_e32 v72, v72, v70
	v_fmac_f16_e32 v73, 0x38b4, v77
	v_add_f16_e32 v76, v80, v88
	v_fmac_f16_e32 v74, 0xb8b4, v77
	v_fmamk_f16 v80, v77, 0xbb9c, v40
	v_sub_f16_e32 v88, v69, v67
	v_fmac_f16_e32 v40, 0x3b9c, v77
	v_sub_f16_e32 v77, v70, v71
	v_add_f16_e32 v89, v72, v71
	v_fmac_f16_e32 v80, 0x38b4, v75
	v_fmac_f16_e32 v73, 0x34f2, v76
	;; [unrolled: 1-line block ×3, first 2 shown]
	v_add_f16_e32 v72, v88, v77
	v_add_f16_e32 v75, v66, v65
	v_fmac_f16_e32 v74, 0x34f2, v76
	v_add_f16_e32 v76, v41, v64
	v_sub_f16_e32 v69, v69, v70
	v_fmac_f16_e32 v80, 0x34f2, v72
	v_fmac_f16_e32 v40, 0x34f2, v72
	v_add_f16_e32 v72, v64, v68
	v_fma_f16 v75, -0.5, v75, v41
	v_sub_f16_e32 v67, v67, v71
	v_add_f16_e32 v70, v76, v66
	v_sub_f16_e32 v71, v64, v66
	v_fmac_f16_e32 v41, -0.5, v72
	v_sub_f16_e32 v66, v66, v64
	v_sub_f16_e32 v88, v65, v68
	;; [unrolled: 1-line block ×3, first 2 shown]
	v_fmamk_f16 v76, v67, 0xbb9c, v75
	v_fmamk_f16 v77, v69, 0x3b9c, v41
	v_fmac_f16_e32 v75, 0x3b9c, v67
	v_add_f16_e32 v66, v66, v88
	v_add_f16_e32 v71, v71, v72
	v_fmac_f16_e32 v76, 0xb8b4, v69
	v_fmac_f16_e32 v77, 0xb8b4, v67
	;; [unrolled: 1-line block ×4, first 2 shown]
	v_add_f16_e32 v65, v70, v65
	v_fmac_f16_e32 v76, 0x34f2, v71
	v_fmac_f16_e32 v77, 0x34f2, v66
	;; [unrolled: 1-line block ×4, first 2 shown]
	v_mul_f16_e32 v70, 0x3a79, v74
	v_mul_f16_e32 v69, 0x38b4, v76
	;; [unrolled: 1-line block ×3, first 2 shown]
	v_fmac_f16_e32 v41, 0x34f2, v66
	v_mul_f16_e32 v91, 0xb8b4, v73
	v_fma_f16 v93, v75, 0x38b4, -v70
	v_fmac_f16_e32 v69, 0x3a79, v73
	v_fmac_f16_e32 v90, 0x34f2, v80
	v_mul_f16_e32 v80, 0xbb9c, v80
	v_fmac_f16_e32 v91, 0x3a79, v76
	v_mul_f16_e32 v70, 0x34f2, v41
	v_add_f16_e32 v88, v65, v68
	v_mul_f16_e32 v68, 0x34f2, v40
	v_fmac_f16_e32 v80, 0x34f2, v77
	v_add_f16_e32 v77, v31, v34
	v_add_f16_e32 v66, v82, v69
	v_mul_f16_e32 v71, 0x3a79, v75
	v_fma_f16 v94, v40, 0xbb9c, -v70
	v_add_f16_e32 v72, v79, v91
	v_sub_f16_e32 v40, v82, v69
	v_sub_f16_e32 v76, v79, v91
	v_fma_f16 v79, -0.5, v77, v7
	v_sub_f16_e32 v82, v28, v32
	v_add_f16_e32 v65, v81, v89
	v_add_f16_e32 v67, v87, v90
	v_fma_f16 v92, v41, 0x3b9c, -v68
	v_add_f16_e32 v68, v83, v93
	v_add_f16_e32 v70, v84, v88
	v_fma_f16 v95, v74, 0xb8b4, -v71
	v_sub_f16_e32 v71, v81, v89
	v_add_f16_e32 v73, v86, v80
	v_sub_f16_e32 v69, v87, v90
	v_sub_f16_e32 v75, v83, v93
	;; [unrolled: 1-line block ×6, first 2 shown]
	v_fmamk_f16 v84, v82, 0x3b9c, v79
	v_sub_f16_e32 v86, v29, v30
	v_fmac_f16_e32 v79, 0xbb9c, v82
	v_add_f16_e32 v87, v33, v35
	v_lshrrev_b32_e32 v64, 16, v7
	v_add_f16_e32 v80, v80, v83
	v_add_f16_e32 v83, v7, v33
	v_fmac_f16_e32 v84, 0x38b4, v86
	v_fmac_f16_e32 v79, 0xb8b4, v86
	v_fmac_f16_e32 v7, -0.5, v87
	v_sub_f16_e32 v88, v31, v33
	v_add_f16_e32 v83, v83, v31
	v_fmac_f16_e32 v84, 0x34f2, v80
	v_fmac_f16_e32 v79, 0x34f2, v80
	v_fmamk_f16 v80, v86, 0xbb9c, v7
	v_fmac_f16_e32 v7, 0x3b9c, v86
	v_sub_f16_e32 v86, v34, v35
	v_add_f16_e32 v83, v83, v34
	v_sub_f16_e32 v33, v33, v35
	v_fmac_f16_e32 v80, 0x38b4, v82
	v_fmac_f16_e32 v7, 0xb8b4, v82
	v_add_f16_e32 v86, v88, v86
	v_add_f16_e32 v88, v29, v30
	;; [unrolled: 1-line block ×5, first 2 shown]
	v_fmac_f16_e32 v80, 0x34f2, v86
	v_fma_f16 v88, -0.5, v88, v64
	v_add_f16_e32 v82, v82, v29
	v_fmac_f16_e32 v7, 0x34f2, v86
	v_sub_f16_e32 v31, v31, v34
	v_sub_f16_e32 v34, v28, v29
	v_fmamk_f16 v86, v33, 0xbb9c, v88
	v_fmac_f16_e32 v64, -0.5, v35
	v_sub_f16_e32 v35, v32, v30
	v_fmac_f16_e32 v88, 0x3b9c, v33
	v_add_f16_e32 v82, v82, v30
	v_fmac_f16_e32 v86, 0xb8b4, v31
	v_sub_f16_e32 v28, v29, v28
	v_add_f16_e32 v34, v34, v35
	v_fmac_f16_e32 v88, 0x38b4, v31
	v_sub_f16_e32 v29, v30, v32
	v_add_f16_e32 v30, v14, v25
	v_add_f16_e32 v82, v82, v32
	v_fmamk_f16 v35, v31, 0x3b9c, v64
	v_fmac_f16_e32 v86, 0x34f2, v34
	v_fmac_f16_e32 v88, 0x34f2, v34
	v_add_f16_e32 v28, v28, v29
	v_fmac_f16_e32 v64, 0xbb9c, v31
	v_fma_f16 v29, -0.5, v30, v8
	v_sub_f16_e32 v30, v15, v14
	v_sub_f16_e32 v31, v27, v25
	;; [unrolled: 1-line block ×3, first 2 shown]
	v_add_f16_e32 v34, v15, v27
	v_fmac_f16_e32 v35, 0xb8b4, v33
	v_fmac_f16_e32 v64, 0x38b4, v33
	v_add_f16_e32 v33, v8, v15
	v_add_f16_e32 v30, v30, v31
	v_fmamk_f16 v31, v32, 0x3b9c, v29
	v_fmac_f16_e32 v8, -0.5, v34
	v_sub_f16_e32 v34, v13, v12
	v_fmac_f16_e32 v29, 0xbb9c, v32
	v_add_f16_e32 v33, v33, v14
	v_fmac_f16_e32 v35, 0x34f2, v28
	v_fmac_f16_e32 v64, 0x34f2, v28
	;; [unrolled: 1-line block ×4, first 2 shown]
	v_add_f16_e32 v28, v33, v25
	v_sub_f16_e32 v33, v14, v15
	v_sub_f16_e32 v15, v15, v27
	v_fmac_f16_e32 v31, 0x34f2, v30
	v_fmac_f16_e32 v29, 0x34f2, v30
	v_fmamk_f16 v30, v34, 0xbb9c, v8
	v_fmac_f16_e32 v8, 0x3b9c, v34
	v_sub_f16_e32 v34, v25, v27
	v_add_f16_e32 v28, v28, v27
	v_add_f16_e32 v27, v10, v26
	v_fmac_f16_e32 v30, 0x38b4, v32
	v_fmac_f16_e32 v8, 0xb8b4, v32
	v_add_f16_e32 v33, v33, v34
	v_add_f16_e32 v34, v13, v12
	;; [unrolled: 1-line block ×3, first 2 shown]
	v_sub_f16_e32 v14, v14, v25
	v_sub_f16_e32 v25, v10, v13
	v_fmac_f16_e32 v30, 0x34f2, v33
	v_fma_f16 v34, -0.5, v34, v9
	v_fmac_f16_e32 v9, -0.5, v27
	v_sub_f16_e32 v27, v26, v12
	v_fmac_f16_e32 v8, 0x34f2, v33
	v_add_f16_e32 v32, v32, v13
	v_fmamk_f16 v33, v15, 0xbb9c, v34
	v_sub_f16_e32 v10, v13, v10
	v_add_f16_e32 v25, v25, v27
	v_fmamk_f16 v27, v14, 0x3b9c, v9
	v_sub_f16_e32 v13, v12, v26
	v_fmac_f16_e32 v33, 0xb8b4, v14
	v_fmac_f16_e32 v34, 0x3b9c, v15
	;; [unrolled: 1-line block ×4, first 2 shown]
	v_add_f16_e32 v10, v10, v13
	v_fmac_f16_e32 v33, 0x34f2, v25
	v_fmac_f16_e32 v34, 0x38b4, v14
	;; [unrolled: 1-line block ×3, first 2 shown]
	v_mul_f16_e32 v15, 0x34f2, v8
	v_fmac_f16_e32 v27, 0x34f2, v10
	v_mul_f16_e32 v13, 0x38b4, v33
	v_fmac_f16_e32 v34, 0x34f2, v25
	v_fmac_f16_e32 v9, 0x34f2, v10
	v_mul_f16_e32 v25, 0x3a79, v29
	v_mul_f16_e32 v14, 0x3b9c, v27
	v_fmac_f16_e32 v13, 0x3a79, v31
	v_mul_f16_e32 v31, 0xb8b4, v31
	v_fma_f16 v15, v9, 0x3b9c, -v15
	v_fma_f16 v25, v34, 0x38b4, -v25
	v_fmac_f16_e32 v14, 0x34f2, v30
	v_mul_f16_e32 v30, 0xbb9c, v30
	v_fmac_f16_e32 v31, 0x3a79, v33
	v_mul_f16_e32 v34, 0x3a79, v34
	v_add_f16_e32 v33, v7, v15
	v_sub_f16_e32 v7, v7, v15
	v_fmac_f16_e32 v30, 0x34f2, v27
	v_add_f16_e32 v27, v79, v25
	v_fma_f16 v29, v29, 0xb8b4, -v34
	v_add_f16_e32 v34, v86, v31
	v_sub_f16_e32 v15, v79, v25
	v_sub_f16_e32 v25, v86, v31
	v_pack_b32_f16 v2, v36, v52
	v_pack_b32_f16 v31, v37, v53
	v_add_f16_e32 v10, v83, v28
	v_sub_f16_e32 v28, v83, v28
	v_add_f16_e32 v83, v35, v30
	v_sub_f16_e32 v30, v35, v30
	v_pack_b32_f16 v35, v38, v54
	v_pack_b32_f16 v36, v39, v56
	v_pack_b32_f16 v37, v42, v57
	v_pack_b32_f16 v38, v55, v63
	ds_store_2addr_b32 v1, v2, v31 offset1:10
	ds_store_2addr_b32 v1, v35, v36 offset0:20 offset1:30
	ds_store_2addr_b32 v1, v37, v38 offset0:40 offset1:50
	v_mul_u32_u24_e32 v2, 0x190, v4
	v_add_f16_e32 v41, v11, v92
	v_add_f16_e32 v74, v78, v94
	;; [unrolled: 1-line block ×4, first 2 shown]
	v_mul_f16_e32 v9, 0x34f2, v9
	v_pack_b32_f16 v4, v49, v59
	v_pack_b32_f16 v31, v50, v60
	;; [unrolled: 1-line block ×4, first 2 shown]
	v_add3_u32 v2, 0, v2, v3
	v_pack_b32_f16 v3, v65, v70
	v_pack_b32_f16 v37, v66, v72
	;; [unrolled: 1-line block ×4, first 2 shown]
	v_add_f16_e32 v12, v12, v26
	v_pack_b32_f16 v41, v68, v87
	v_pack_b32_f16 v42, v71, v81
	v_fma_f16 v8, v8, 0xbb9c, -v9
	ds_store_2addr_b32 v1, v4, v31 offset0:60 offset1:70
	ds_store_2addr_b32 v1, v35, v36 offset0:80 offset1:90
	ds_store_2addr_b32 v2, v3, v37 offset1:10
	ds_store_2addr_b32 v2, v38, v39 offset0:20 offset1:30
	ds_store_2addr_b32 v2, v41, v42 offset0:40 offset1:50
	v_mul_u32_u24_e32 v1, 0x190, v5
	v_pack_b32_f16 v4, v40, v76
	v_pack_b32_f16 v5, v69, v77
	v_sub_f16_e32 v11, v11, v92
	v_sub_f16_e32 v78, v78, v94
	;; [unrolled: 1-line block ×3, first 2 shown]
	v_add_f16_e32 v26, v84, v13
	v_add_f16_e32 v9, v82, v12
	v_lshlrev_b32_e32 v3, 2, v6
	v_add_f16_e32 v32, v80, v14
	v_sub_f16_e32 v13, v84, v13
	v_add_f16_e32 v84, v64, v8
	ds_store_2addr_b32 v2, v4, v5 offset0:60 offset1:70
	v_add_nc_u32_e32 v4, 0xffffff9c, v16
	v_sub_f16_e32 v14, v80, v14
	v_add_f16_e32 v80, v88, v29
	v_sub_f16_e32 v12, v82, v12
	v_pack_b32_f16 v6, v11, v78
	v_pack_b32_f16 v11, v75, v85
	v_add3_u32 v3, 0, v1, v3
	v_pack_b32_f16 v1, v10, v9
	v_pack_b32_f16 v9, v26, v34
	v_pack_b32_f16 v10, v32, v83
	v_pack_b32_f16 v26, v33, v84
	s_wait_alu 0xf1ff
	v_cndmask_b32_e64 v61, v4, v16, s0
	ds_store_2addr_b32 v2, v6, v11 offset0:80 offset1:90
	ds_store_2addr_b32 v3, v1, v9 offset1:10
	ds_store_2addr_b32 v3, v10, v26 offset0:20 offset1:30
	v_pack_b32_f16 v1, v27, v80
	v_pack_b32_f16 v2, v28, v12
	;; [unrolled: 1-line block ×3, first 2 shown]
	v_mul_i32_i24_e32 v25, 5, v61
	v_mov_b32_e32 v26, 0
	v_sub_f16_e32 v8, v64, v8
	ds_store_2addr_b32 v3, v1, v2 offset0:40 offset1:50
	v_mul_lo_u16 v2, v0, 41
	v_sub_f16_e32 v29, v88, v29
	v_lshlrev_b64_e32 v[0:1], 2, v[25:26]
	v_pack_b32_f16 v5, v14, v30
	v_pack_b32_f16 v6, v7, v8
	v_lshrrev_b16 v59, 12, v2
	v_pack_b32_f16 v7, v15, v29
	ds_store_2addr_b32 v3, v4, v5 offset0:60 offset1:70
	ds_store_2addr_b32 v3, v6, v7 offset0:80 offset1:90
	v_add_co_u32 v62, s0, s4, v0
	s_wait_alu 0xf1ff
	v_add_co_ci_u32_e64 v63, s0, s5, v1, s0
	v_mul_lo_u16 v0, 0x64, v59
	v_lshrrev_b16 v1, 2, v24
	global_wb scope:SCOPE_SE
	s_wait_dscnt 0x0
	s_barrier_signal -1
	s_barrier_wait -1
	v_sub_nc_u16 v0, v20, v0
	v_and_b32_e32 v1, 0xffff, v1
	global_inv scope:SCOPE_SE
	global_load_b128 v[8:11], v[62:63], off offset:360
	v_lshrrev_b16 v5, 2, v23
	v_and_b32_e32 v60, 0xff, v0
	v_mul_u32_u24_e32 v0, 0x147b, v1
	v_add_nc_u32_e32 v51, 0x800, v43
	v_add_nc_u32_e32 v54, 0x2200, v43
	;; [unrolled: 1-line block ×3, first 2 shown]
	v_mul_u32_u24_e32 v1, 5, v60
	v_lshrrev_b32_e32 v25, 17, v0
	v_add_nc_u32_e32 v55, 0x1000, v43
	v_add_nc_u32_e32 v53, 0x2600, v43
	;; [unrolled: 1-line block ×3, first 2 shown]
	v_lshlrev_b32_e32 v66, 2, v1
	v_mul_lo_u16 v4, 0x64, v25
	v_add_nc_u32_e32 v50, 0x1e00, v43
	ds_load_2addr_b32 v[39:40], v51 offset0:88 offset1:208
	ds_load_2addr_b32 v[27:28], v54 offset0:104 offset1:224
	global_load_b128 v[0:3], v66, s[4:5] offset:360
	v_sub_nc_u16 v4, v24, v4
	ds_load_2addr_b32 v[37:38], v52 offset0:40 offset1:160
	v_cmp_lt_u32_e64 s0, 0x63, v16
	v_and_b32_e32 v59, 0xffff, v59
	v_lshlrev_b32_e32 v60, 2, v60
	v_and_b32_e32 v58, 0xffff, v4
	v_and_b32_e32 v4, 0xffff, v5
	v_mul_u32_u24_e32 v25, 0x960, v25
	v_mul_u32_u24_e32 v59, 0x960, v59
	s_delay_alu instid0(VALU_DEP_4) | instskip(NEXT) | instid1(VALU_DEP_4)
	v_mul_u32_u24_e32 v5, 5, v58
	v_mul_u32_u24_e32 v4, 0x147b, v4
	s_delay_alu instid0(VALU_DEP_3) | instskip(NEXT) | instid1(VALU_DEP_3)
	v_add3_u32 v59, 0, v59, v60
	v_lshlrev_b32_e32 v70, 2, v5
	s_delay_alu instid0(VALU_DEP_3)
	v_lshrrev_b32_e32 v56, 17, v4
	s_wait_dscnt 0x2
	v_lshrrev_b32_e32 v84, 16, v39
	s_wait_dscnt 0x1
	v_lshrrev_b32_e32 v79, 16, v28
	v_lshrrev_b32_e32 v78, 16, v40
	global_load_b128 v[12:15], v70, s[4:5] offset:360
	v_mul_lo_u16 v4, 0x64, v56
	s_wait_dscnt 0x0
	v_lshrrev_b32_e32 v77, 16, v37
	v_lshrrev_b32_e32 v74, 16, v38
	s_delay_alu instid0(VALU_DEP_3) | instskip(NEXT) | instid1(VALU_DEP_1)
	v_sub_nc_u16 v4, v23, v4
	v_and_b32_e32 v57, 0xffff, v4
	s_delay_alu instid0(VALU_DEP_1) | instskip(NEXT) | instid1(VALU_DEP_1)
	v_mul_u32_u24_e32 v4, 5, v57
	v_lshlrev_b32_e32 v69, 2, v4
	global_load_b128 v[4:7], v69, s[4:5] offset:360
	ds_load_2addr_b32 v[41:42], v21 offset0:8 offset1:128
	ds_load_2addr_b32 v[35:36], v53 offset0:88 offset1:208
	;; [unrolled: 1-line block ×5, first 2 shown]
	ds_load_u16 v80, v43 offset:7202
	global_load_b32 v64, v[62:63], off offset:376
	ds_load_b32 v62, v43 offset:13920
	s_wait_dscnt 0x6
	v_lshrrev_b32_e32 v76, 16, v42
	s_wait_dscnt 0x5
	v_lshrrev_b32_e32 v75, 16, v35
	v_lshrrev_b32_e32 v72, 16, v36
	s_wait_dscnt 0x2
	v_lshrrev_b32_e32 v85, 16, v30
	v_lshrrev_b32_e32 v73, 16, v33
	;; [unrolled: 1-line block ×3, first 2 shown]
	s_wait_loadcnt 0x4
	v_lshrrev_b32_e32 v65, 16, v8
	v_lshrrev_b32_e32 v68, 16, v9
	;; [unrolled: 1-line block ×4, first 2 shown]
	s_delay_alu instid0(VALU_DEP_4) | instskip(NEXT) | instid1(VALU_DEP_4)
	v_mul_f16_e32 v63, v65, v39
	v_mul_f16_e32 v67, v68, v30
	;; [unrolled: 1-line block ×3, first 2 shown]
	s_delay_alu instid0(VALU_DEP_4)
	v_mul_f16_e32 v65, v82, v41
	s_wait_dscnt 0x1
	v_mul_f16_e32 v82, v80, v82
	v_fmac_f16_e32 v63, v8, v84
	v_mul_f16_e32 v84, v68, v85
	v_mul_f16_e32 v68, v28, v83
	;; [unrolled: 1-line block ×3, first 2 shown]
	v_fmac_f16_e32 v67, v9, v85
	v_fmac_f16_e32 v65, v80, v10
	v_fma_f16 v30, v9, v30, -v84
	v_fmac_f16_e32 v68, v79, v11
	s_wait_loadcnt 0x3
	v_lshrrev_b32_e32 v79, 16, v0
	v_fma_f16 v41, v10, v41, -v82
	v_lshrrev_b32_e32 v10, 16, v1
	v_fma_f16 v11, v28, v11, -v83
	v_lshrrev_b32_e32 v28, 16, v2
	v_mul_f16_e32 v9, v78, v79
	v_mul_f16_e32 v79, v40, v79
	;; [unrolled: 1-line block ×3, first 2 shown]
	v_lshrrev_b32_e32 v80, 16, v34
	v_fma_f16 v81, v8, v39, -v81
	v_fma_f16 v82, v40, v0, -v9
	v_mul_f16_e32 v9, v77, v10
	v_mul_f16_e32 v10, v76, v28
	v_fmac_f16_e32 v79, v78, v0
	v_lshrrev_b32_e32 v0, 16, v3
	v_mul_f16_e32 v28, v42, v28
	v_fma_f16 v37, v37, v1, -v9
	v_fmac_f16_e32 v83, v77, v1
	v_fma_f16 v77, v42, v2, -v10
	v_mul_f16_e32 v1, v75, v0
	s_wait_loadcnt 0x2
	v_lshrrev_b32_e32 v9, 16, v13
	v_mul_f16_e32 v42, v35, v0
	v_fmac_f16_e32 v28, v76, v2
	v_lshrrev_b16 v10, 2, v22
	v_fma_f16 v76, v35, v3, -v1
	v_mul_f16_e32 v2, v74, v9
	v_fmac_f16_e32 v42, v75, v3
	v_lshrrev_b32_e32 v3, 16, v15
	v_lshrrev_b32_e32 v1, 16, v12
	v_add_nc_u32_e32 v8, 0x1800, v43
	v_fma_f16 v78, v38, v13, -v2
	v_mul_f16_e32 v38, v38, v9
	v_mul_f16_e32 v9, v72, v3
	;; [unrolled: 1-line block ×3, first 2 shown]
	v_lshrrev_b32_e32 v2, 16, v14
	v_mul_f16_e32 v1, v73, v1
	v_fmac_f16_e32 v38, v74, v13
	v_mul_f16_e32 v74, v36, v3
	v_and_b32_e32 v3, 0xffff, v10
	ds_load_b32 v85, v48
	ds_load_b32 v86, v46
	ds_load_b32 v87, v43
	ds_load_2addr_b32 v[39:40], v8 offset0:24 offset1:144
	v_add_nc_u32_e32 v0, 0x2a00, v43
	v_fmac_f16_e32 v75, v73, v12
	v_mul_u32_u24_e32 v3, 0x147b, v3
	v_mul_f16_e32 v13, v31, v2
	v_fma_f16 v73, v36, v15, -v9
	s_wait_loadcnt 0x1
	v_lshrrev_b32_e32 v10, 16, v4
	v_fma_f16 v12, v33, v12, -v1
	v_lshrrev_b32_e32 v9, 17, v3
	ds_load_2addr_b32 v[35:36], v0 offset0:72 offset1:192
	v_mul_f16_e32 v2, v71, v2
	v_mul_f16_e32 v1, v80, v10
	v_fmac_f16_e32 v13, v71, v14
	s_clause 0x1
	global_load_b32 v66, v66, s[4:5] offset:376
	global_load_b32 v70, v70, s[4:5] offset:376
	v_fmac_f16_e32 v74, v72, v15
	global_load_b32 v15, v69, s[4:5] offset:376
	v_fma_f16 v71, v34, v4, -v1
	v_mul_lo_u16 v1, 0x64, v9
	v_lshrrev_b32_e32 v69, 16, v32
	v_fma_f16 v14, v31, v14, -v2
	v_lshrrev_b32_e32 v2, 16, v6
	v_mul_f16_e32 v34, v34, v10
	v_sub_nc_u16 v1, v22, v1
	v_lshrrev_b32_e32 v33, 16, v5
	s_wait_dscnt 0x1
	v_lshrrev_b32_e32 v31, 16, v39
	v_mul_f16_e32 v3, v69, v2
	v_mul_f16_e32 v84, v32, v2
	v_and_b32_e32 v10, 0xffff, v1
	v_mul_f16_e32 v88, v39, v33
	v_fmac_f16_e32 v34, v80, v4
	v_lshrrev_b32_e32 v1, 16, v7
	v_fma_f16 v72, v32, v6, -v3
	v_mul_u32_u24_e32 v4, 5, v10
	s_wait_dscnt 0x0
	v_lshrrev_b32_e32 v2, 16, v35
	v_mul_f16_e32 v3, v31, v33
	v_fmac_f16_e32 v88, v31, v5
	v_fmac_f16_e32 v84, v69, v6
	v_mul_f16_e32 v69, v35, v1
	v_lshlrev_b32_e32 v31, 2, v4
	v_mul_f16_e32 v6, v2, v1
	v_fma_f16 v39, v39, v5, -v3
	v_lshrrev_b32_e32 v5, 16, v29
	v_fmac_f16_e32 v69, v2, v7
	s_clause 0x1
	global_load_b128 v[1:4], v31, s[4:5] offset:360
	global_load_b32 v31, v31, s[4:5] offset:376
	v_fma_f16 v35, v35, v7, -v6
	v_add_f16_e32 v33, v63, v65
	s_wait_loadcnt 0x1
	v_lshrrev_b32_e32 v6, 16, v1
	s_delay_alu instid0(VALU_DEP_1) | instskip(SKIP_2) | instid1(VALU_DEP_3)
	v_mul_f16_e32 v7, v5, v6
	v_mul_f16_e32 v89, v29, v6
	v_lshrrev_b32_e32 v6, 16, v40
	v_fma_f16 v80, v29, v1, -v7
	v_lshrrev_b32_e32 v7, 16, v2
	s_delay_alu instid0(VALU_DEP_4) | instskip(SKIP_1) | instid1(VALU_DEP_3)
	v_fmac_f16_e32 v89, v5, v1
	v_lshrrev_b32_e32 v1, 16, v64
	v_mul_f16_e32 v29, v6, v7
	s_delay_alu instid0(VALU_DEP_1) | instskip(SKIP_3) | instid1(VALU_DEP_3)
	v_fma_f16 v90, v40, v2, -v29
	v_mul_f16_e32 v40, v40, v7
	v_lshrrev_b32_e32 v7, 16, v27
	v_lshrrev_b32_e32 v29, 16, v3
	v_fmac_f16_e32 v40, v6, v2
	s_delay_alu instid0(VALU_DEP_2) | instskip(SKIP_2) | instid1(VALU_DEP_3)
	v_mul_f16_e32 v32, v7, v29
	v_mul_f16_e32 v92, v27, v29
	v_lshrrev_b32_e32 v29, 16, v4
	v_fma_f16 v91, v27, v3, -v32
	v_lshrrev_b32_e32 v27, 16, v36
	s_delay_alu instid0(VALU_DEP_3)
	v_mul_f16_e32 v93, v36, v29
	v_fmac_f16_e32 v92, v7, v3
	v_add_nc_u32_e32 v3, 0x2e00, v43
	v_add_f16_e32 v7, v87, v30
	v_mul_f16_e32 v32, v27, v29
	v_fmac_f16_e32 v93, v27, v4
	s_delay_alu instid0(VALU_DEP_3) | instskip(NEXT) | instid1(VALU_DEP_3)
	v_add_f16_e32 v29, v7, v11
	v_fma_f16 v36, v36, v4, -v32
	ds_load_2addr_b32 v[4:5], v3 offset0:56 offset1:176
	v_sub_f16_e32 v7, v67, v68
	s_wait_dscnt 0x0
	v_lshrrev_b32_e32 v2, 16, v4
	v_mul_f16_e32 v6, v4, v1
	s_delay_alu instid0(VALU_DEP_2) | instskip(NEXT) | instid1(VALU_DEP_2)
	v_mul_f16_e32 v1, v2, v1
	v_fmac_f16_e32 v6, v2, v64
	v_add_f16_e32 v2, v30, v11
	s_delay_alu instid0(VALU_DEP_3) | instskip(SKIP_1) | instid1(VALU_DEP_3)
	v_fma_f16 v1, v4, v64, -v1
	v_lshrrev_b32_e32 v4, 16, v87
	v_fmac_f16_e32 v87, -0.5, v2
	v_add_f16_e32 v2, v67, v68
	v_add_f16_e32 v33, v33, v6
	s_delay_alu instid0(VALU_DEP_4) | instskip(NEXT) | instid1(VALU_DEP_3)
	v_add_f16_e32 v27, v4, v67
	v_fmac_f16_e32 v4, -0.5, v2
	v_sub_f16_e32 v2, v30, v11
	v_fmamk_f16 v11, v7, 0x3aee, v87
	v_fmac_f16_e32 v87, 0xbaee, v7
	v_add_f16_e32 v7, v81, v41
	v_add_f16_e32 v27, v27, v68
	v_fmamk_f16 v30, v2, 0xbaee, v4
	v_fmac_f16_e32 v4, 0x3aee, v2
	v_add_f16_e32 v2, v41, v1
	s_delay_alu instid0(VALU_DEP_1) | instskip(SKIP_1) | instid1(VALU_DEP_1)
	v_fmac_f16_e32 v81, -0.5, v2
	v_sub_f16_e32 v2, v65, v6
	v_fmamk_f16 v32, v2, 0x3aee, v81
	v_fmac_f16_e32 v81, 0xbaee, v2
	v_add_f16_e32 v2, v65, v6
	s_delay_alu instid0(VALU_DEP_2) | instskip(NEXT) | instid1(VALU_DEP_2)
	v_mul_f16_e32 v65, -0.5, v81
	v_fmac_f16_e32 v63, -0.5, v2
	v_sub_f16_e32 v2, v41, v1
	v_add_f16_e32 v41, v7, v1
	v_lshlrev_b32_e32 v1, 2, v61
	s_delay_alu instid0(VALU_DEP_3) | instskip(SKIP_3) | instid1(VALU_DEP_2)
	v_fmamk_f16 v64, v2, 0xbaee, v63
	v_fmac_f16_e32 v63, 0x3aee, v2
	s_wait_alu 0xf1ff
	v_cndmask_b32_e64 v2, 0, 0x960, s0
	v_fmac_f16_e32 v65, 0x3aee, v63
	v_mul_f16_e32 v63, -0.5, v63
	s_delay_alu instid0(VALU_DEP_3) | instskip(NEXT) | instid1(VALU_DEP_3)
	v_add3_u32 v61, 0, v2, v1
	v_add_f16_e32 v1, v87, v65
	s_delay_alu instid0(VALU_DEP_3) | instskip(NEXT) | instid1(VALU_DEP_3)
	v_fmac_f16_e32 v63, 0xbaee, v81
	v_add_nc_u32_e32 v95, 0x200, v61
	s_delay_alu instid0(VALU_DEP_2) | instskip(SKIP_2) | instid1(VALU_DEP_3)
	v_add_f16_e32 v2, v4, v63
	v_sub_f16_e32 v63, v4, v63
	v_add_f16_e32 v4, v37, v76
	v_pack_b32_f16 v67, v1, v2
	v_sub_f16_e32 v1, v29, v41
	v_sub_f16_e32 v2, v27, v33
	v_add_f16_e32 v27, v27, v33
	v_add_f16_e32 v33, v82, v77
	s_delay_alu instid0(VALU_DEP_3)
	v_pack_b32_f16 v68, v1, v2
	v_lshl_add_u32 v2, v22, 2, 0
	v_add_nc_u32_e32 v1, 0x3200, v43
	ds_load_b32 v81, v2
	ds_load_b32 v94, v47
	ds_load_2addr_b32 v[6:7], v1 offset0:40 offset1:160
	global_wb scope:SCOPE_SE
	s_wait_loadcnt_dscnt 0x0
	s_barrier_signal -1
	s_barrier_wait -1
	global_inv scope:SCOPE_SE
	ds_store_2addr_b32 v95, v67, v68 offset0:72 offset1:172
	v_lshrrev_b32_e32 v67, 16, v5
	v_lshrrev_b32_e32 v68, 16, v66
	s_delay_alu instid0(VALU_DEP_1) | instskip(SKIP_1) | instid1(VALU_DEP_2)
	v_mul_f16_e32 v95, v67, v68
	v_mul_f16_e32 v68, v5, v68
	v_fma_f16 v5, v5, v66, -v95
	s_delay_alu instid0(VALU_DEP_2) | instskip(SKIP_2) | instid1(VALU_DEP_2)
	v_fmac_f16_e32 v68, v67, v66
	v_lshrrev_b32_e32 v66, 16, v70
	v_lshrrev_b32_e32 v67, 16, v6
	v_mul_f16_e32 v95, v6, v66
	s_delay_alu instid0(VALU_DEP_2) | instskip(NEXT) | instid1(VALU_DEP_2)
	v_mul_f16_e32 v66, v67, v66
	v_fmac_f16_e32 v95, v67, v70
	s_delay_alu instid0(VALU_DEP_2) | instskip(SKIP_2) | instid1(VALU_DEP_1)
	v_fma_f16 v66, v6, v70, -v66
	v_lshrrev_b32_e32 v6, 16, v7
	v_lshrrev_b32_e32 v67, 16, v15
	v_mul_f16_e32 v70, v6, v67
	v_mul_f16_e32 v67, v7, v67
	s_delay_alu instid0(VALU_DEP_2) | instskip(NEXT) | instid1(VALU_DEP_2)
	v_fma_f16 v70, v7, v15, -v70
	v_fmac_f16_e32 v67, v6, v15
	v_lshrrev_b32_e32 v6, 16, v62
	v_lshrrev_b32_e32 v7, 16, v31
	s_delay_alu instid0(VALU_DEP_1) | instskip(SKIP_2) | instid1(VALU_DEP_3)
	v_mul_f16_e32 v15, v6, v7
	v_mul_f16_e32 v96, v62, v7
	;; [unrolled: 1-line block ×3, first 2 shown]
	v_fma_f16 v62, v62, v31, -v15
	v_mul_f16_e32 v15, 0xbaee, v32
	s_delay_alu instid0(VALU_DEP_3)
	v_fmac_f16_e32 v7, 0.5, v32
	v_fmac_f16_e32 v96, v6, v31
	v_add_f16_e32 v6, v29, v41
	v_sub_f16_e32 v31, v83, v42
	v_fmac_f16_e32 v15, 0.5, v64
	v_add_f16_e32 v29, v11, v7
	v_sub_f16_e32 v41, v11, v7
	v_sub_f16_e32 v64, v87, v65
	v_lshrrev_b32_e32 v11, 16, v85
	v_add_f16_e32 v7, v30, v15
	v_sub_f16_e32 v65, v30, v15
	v_add_f16_e32 v15, v85, v37
	v_fmac_f16_e32 v85, -0.5, v4
	v_add_f16_e32 v4, v83, v42
	v_add_f16_e32 v30, v11, v83
	v_pack_b32_f16 v7, v29, v7
	v_add_f16_e32 v87, v89, v92
	v_fmamk_f16 v32, v31, 0x3aee, v85
	v_fmac_f16_e32 v11, -0.5, v4
	v_add_f16_e32 v4, v15, v76
	v_sub_f16_e32 v15, v37, v76
	v_fmac_f16_e32 v85, 0xbaee, v31
	v_add_f16_e32 v37, v79, v28
	v_add_f16_e32 v30, v30, v42
	v_pack_b32_f16 v41, v41, v65
	v_fmamk_f16 v31, v15, 0xbaee, v11
	v_fmac_f16_e32 v11, 0x3aee, v15
	v_add_f16_e32 v15, v77, v5
	v_pack_b32_f16 v63, v64, v63
	s_delay_alu instid0(VALU_DEP_2) | instskip(SKIP_2) | instid1(VALU_DEP_2)
	v_fmac_f16_e32 v82, -0.5, v15
	v_add_f16_e32 v15, v28, v68
	v_sub_f16_e32 v28, v28, v68
	v_fmac_f16_e32 v79, -0.5, v15
	v_add_f16_e32 v15, v33, v5
	v_sub_f16_e32 v5, v77, v5
	s_delay_alu instid0(VALU_DEP_4)
	v_fmamk_f16 v33, v28, 0x3aee, v82
	v_fmac_f16_e32 v82, 0xbaee, v28
	v_add_f16_e32 v28, v37, v68
	v_add_f16_e32 v68, v4, v15
	v_fmamk_f16 v37, v5, 0xbaee, v79
	v_fmac_f16_e32 v79, 0x3aee, v5
	v_sub_f16_e32 v76, v4, v15
	v_pack_b32_f16 v15, v6, v27
	s_delay_alu instid0(VALU_DEP_4) | instskip(NEXT) | instid1(VALU_DEP_4)
	v_mul_f16_e32 v5, 0x3aee, v37
	v_mul_f16_e32 v42, -0.5, v79
	ds_store_2addr_b32 v61, v15, v7 offset1:100
	v_add_f16_e32 v15, v78, v73
	v_fmac_f16_e32 v5, 0.5, v33
	v_mul_f16_e32 v33, 0xbaee, v33
	v_fmac_f16_e32 v42, 0xbaee, v82
	v_add_nc_u32_e32 v61, 0x400, v61
	s_delay_alu instid0(VALU_DEP_4) | instskip(NEXT) | instid1(VALU_DEP_4)
	v_add_f16_e32 v77, v32, v5
	v_fmac_f16_e32 v33, 0.5, v37
	v_mul_f16_e32 v37, -0.5, v82
	v_sub_f16_e32 v4, v32, v5
	v_sub_f16_e32 v7, v11, v42
	;; [unrolled: 1-line block ×3, first 2 shown]
	v_add_f16_e32 v83, v31, v33
	v_fmac_f16_e32 v37, 0x3aee, v79
	v_sub_f16_e32 v6, v31, v33
	s_delay_alu instid0(VALU_DEP_4) | instskip(NEXT) | instid1(VALU_DEP_4)
	v_pack_b32_f16 v65, v76, v82
	v_pack_b32_f16 v60, v77, v83
	s_delay_alu instid0(VALU_DEP_4)
	v_add_f16_e32 v79, v85, v37
	v_sub_f16_e32 v5, v85, v37
	v_add_f16_e32 v85, v11, v42
	v_lshrrev_b32_e32 v42, 16, v94
	v_add_f16_e32 v11, v94, v78
	v_fmac_f16_e32 v94, -0.5, v15
	v_add_f16_e32 v15, v38, v74
	v_add_f16_e32 v37, v30, v28
	;; [unrolled: 1-line block ×3, first 2 shown]
	v_sub_f16_e32 v28, v38, v74
	v_add_f16_e32 v11, v11, v73
	v_fmac_f16_e32 v42, -0.5, v15
	v_sub_f16_e32 v15, v78, v73
	v_add_f16_e32 v30, v27, v74
	v_add_f16_e32 v27, v12, v14
	v_fmamk_f16 v29, v28, 0x3aee, v94
	v_fmac_f16_e32 v94, 0xbaee, v28
	v_fmamk_f16 v33, v15, 0xbaee, v42
	v_fmac_f16_e32 v42, 0x3aee, v15
	v_add_f16_e32 v15, v14, v66
	v_add_f16_e32 v28, v75, v13
	v_sub_f16_e32 v14, v14, v66
	v_add_f16_e32 v74, v34, v84
	v_add_f16_e32 v78, v81, v90
	v_fmac_f16_e32 v12, -0.5, v15
	v_add_f16_e32 v15, v13, v95
	v_sub_f16_e32 v13, v13, v95
	v_pack_b32_f16 v37, v68, v37
	ds_store_2addr_b32 v61, v41, v63 offset0:144 offset1:244
	ds_store_2addr_b32 v59, v37, v60 offset1:100
	v_fmac_f16_e32 v75, -0.5, v15
	v_add_f16_e32 v15, v27, v66
	v_fmamk_f16 v27, v13, 0x3aee, v12
	v_fmac_f16_e32 v12, 0xbaee, v13
	v_add_f16_e32 v13, v28, v95
	v_fmamk_f16 v28, v14, 0xbaee, v75
	v_fmac_f16_e32 v75, 0x3aee, v14
	v_mul_f16_e32 v38, 0xbaee, v27
	v_mul_f16_e32 v31, -0.5, v12
	v_lshlrev_b32_e32 v37, 2, v58
	v_mul_f16_e32 v14, 0x3aee, v28
	v_mul_f16_e32 v66, -0.5, v75
	v_fmac_f16_e32 v38, 0.5, v28
	v_fmac_f16_e32 v31, 0x3aee, v75
	v_pack_b32_f16 v64, v79, v85
	v_fmac_f16_e32 v14, 0.5, v27
	v_fmac_f16_e32 v66, 0xbaee, v12
	v_add_f16_e32 v27, v11, v15
	v_sub_f16_e32 v15, v11, v15
	v_sub_f16_e32 v12, v94, v31
	v_add_f16_e32 v28, v29, v14
	v_sub_f16_e32 v11, v29, v14
	v_add_f16_e32 v29, v94, v31
	v_add_f16_e32 v31, v30, v13
	v_sub_f16_e32 v30, v30, v13
	v_add_f16_e32 v32, v33, v38
	v_sub_f16_e32 v13, v33, v38
	v_add_f16_e32 v38, v39, v35
	v_add_f16_e32 v33, v42, v66
	v_sub_f16_e32 v14, v42, v66
	v_lshrrev_b32_e32 v42, 16, v86
	v_add_f16_e32 v66, v86, v39
	v_fmac_f16_e32 v86, -0.5, v38
	v_add_f16_e32 v38, v88, v69
	v_add_nc_u32_e32 v68, 0x200, v59
	v_add_f16_e32 v73, v42, v88
	v_pack_b32_f16 v4, v4, v6
	v_pack_b32_f16 v5, v5, v7
	v_fmac_f16_e32 v42, -0.5, v38
	v_add_f16_e32 v38, v66, v35
	v_sub_f16_e32 v35, v39, v35
	v_sub_f16_e32 v39, v88, v69
	v_add_nc_u32_e32 v6, 0x400, v59
	v_add3_u32 v7, 0, v25, v37
	v_pack_b32_f16 v25, v27, v31
	v_pack_b32_f16 v27, v28, v32
	v_fmamk_f16 v66, v39, 0x3aee, v86
	v_fmac_f16_e32 v86, 0xbaee, v39
	v_add_f16_e32 v39, v73, v69
	v_fmamk_f16 v69, v35, 0xbaee, v42
	v_fmac_f16_e32 v42, 0x3aee, v35
	v_add_f16_e32 v35, v72, v70
	v_add_f16_e32 v73, v71, v72
	ds_store_2addr_b32 v68, v64, v65 offset0:72 offset1:172
	ds_store_2addr_b32 v6, v4, v5 offset0:144 offset1:244
	ds_store_2addr_b32 v7, v25, v27 offset1:100
	v_mul_u32_u24_e32 v4, 0x960, v56
	v_fmac_f16_e32 v71, -0.5, v35
	v_add_f16_e32 v35, v84, v67
	v_lshlrev_b32_e32 v5, 2, v57
	v_pack_b32_f16 v28, v29, v33
	v_pack_b32_f16 v15, v15, v30
	v_add_nc_u32_e32 v29, 0x200, v7
	v_fmac_f16_e32 v34, -0.5, v35
	v_add_f16_e32 v35, v73, v70
	v_sub_f16_e32 v70, v72, v70
	v_sub_f16_e32 v72, v84, v67
	v_add_f16_e32 v67, v74, v67
	v_pack_b32_f16 v6, v11, v13
	v_pack_b32_f16 v11, v12, v14
	v_add_nc_u32_e32 v7, 0x400, v7
	v_fmamk_f16 v73, v72, 0x3aee, v71
	v_fmac_f16_e32 v71, 0xbaee, v72
	v_fmamk_f16 v72, v70, 0xbaee, v34
	v_fmac_f16_e32 v34, 0x3aee, v70
	v_add3_u32 v4, 0, v4, v5
	ds_store_2addr_b32 v29, v28, v15 offset0:72 offset1:172
	v_mul_u32_u24_e32 v27, 5, v16
	v_mul_f16_e32 v70, 0x3aee, v72
	v_mul_f16_e32 v74, -0.5, v34
	v_add_nc_u32_e32 v15, 0x200, v4
	s_delay_alu instid0(VALU_DEP_3) | instskip(SKIP_1) | instid1(VALU_DEP_4)
	v_fmac_f16_e32 v70, 0.5, v73
	v_mul_f16_e32 v73, 0xbaee, v73
	v_fmac_f16_e32 v74, 0xbaee, v71
	s_delay_alu instid0(VALU_DEP_3) | instskip(NEXT) | instid1(VALU_DEP_3)
	v_add_f16_e32 v75, v66, v70
	v_fmac_f16_e32 v73, 0.5, v72
	v_mul_f16_e32 v72, -0.5, v71
	v_add_f16_e32 v71, v38, v35
	v_sub_f16_e32 v38, v38, v35
	s_delay_alu instid0(VALU_DEP_3)
	v_fmac_f16_e32 v72, 0x3aee, v34
	v_sub_f16_e32 v34, v66, v70
	v_add_f16_e32 v70, v39, v67
	v_sub_f16_e32 v39, v39, v67
	v_add_f16_e32 v67, v69, v73
	;; [unrolled: 2-line block ×3, first 2 shown]
	v_add_f16_e32 v66, v86, v72
	v_sub_f16_e32 v35, v86, v72
	v_add_f16_e32 v72, v42, v74
	v_sub_f16_e32 v42, v42, v74
	v_lshrrev_b32_e32 v74, 16, v81
	v_fmac_f16_e32 v81, -0.5, v73
	v_add_f16_e32 v73, v40, v93
	v_add_f16_e32 v86, v80, v91
	v_pack_b32_f16 v5, v71, v70
	v_add_f16_e32 v84, v74, v40
	v_sub_f16_e32 v40, v40, v93
	v_fmac_f16_e32 v74, -0.5, v73
	v_add_f16_e32 v73, v78, v36
	v_sub_f16_e32 v36, v90, v36
	v_pack_b32_f16 v12, v75, v67
	v_fmamk_f16 v78, v40, 0x3aee, v81
	v_fmac_f16_e32 v81, 0xbaee, v40
	v_add_f16_e32 v40, v84, v93
	v_fmamk_f16 v84, v36, 0xbaee, v74
	v_fmac_f16_e32 v74, 0x3aee, v36
	v_add_f16_e32 v36, v91, v62
	ds_store_2addr_b32 v7, v6, v11 offset0:144 offset1:244
	ds_store_2addr_b32 v4, v5, v12 offset1:100
	v_mul_u32_u24_e32 v5, 0x960, v9
	v_lshlrev_b32_e32 v6, 2, v10
	v_pack_b32_f16 v13, v66, v72
	v_fmac_f16_e32 v80, -0.5, v36
	v_add_f16_e32 v36, v92, v96
	v_pack_b32_f16 v14, v38, v39
	v_add3_u32 v5, 0, v5, v6
	v_pack_b32_f16 v7, v34, v69
	v_pack_b32_f16 v9, v35, v42
	v_fmac_f16_e32 v89, -0.5, v36
	v_add_f16_e32 v36, v86, v62
	v_sub_f16_e32 v62, v91, v62
	v_sub_f16_e32 v86, v92, v96
	v_add_nc_u32_e32 v4, 0x400, v4
	ds_store_2addr_b32 v15, v13, v14 offset0:72 offset1:172
	v_add_nc_u32_e32 v13, 0x200, v5
	v_add_nc_u32_e32 v25, 0x400, v5
	v_fmamk_f16 v88, v86, 0x3aee, v80
	v_fmac_f16_e32 v80, 0xbaee, v86
	v_add_f16_e32 v86, v87, v96
	v_fmamk_f16 v87, v62, 0xbaee, v89
	v_fmac_f16_e32 v89, 0x3aee, v62
	s_delay_alu instid0(VALU_DEP_2) | instskip(NEXT) | instid1(VALU_DEP_1)
	v_mul_f16_e32 v62, 0x3aee, v87
	v_fmac_f16_e32 v62, 0.5, v88
	v_mul_f16_e32 v88, 0xbaee, v88
	s_delay_alu instid0(VALU_DEP_1) | instskip(SKIP_1) | instid1(VALU_DEP_1)
	v_fmac_f16_e32 v88, 0.5, v87
	v_mul_f16_e32 v87, -0.5, v80
	v_fmac_f16_e32 v87, 0x3aee, v89
	v_mul_f16_e32 v89, -0.5, v89
	s_delay_alu instid0(VALU_DEP_1)
	v_fmac_f16_e32 v89, 0xbaee, v80
	v_add_f16_e32 v80, v73, v36
	v_sub_f16_e32 v36, v73, v36
	v_add_f16_e32 v73, v78, v62
	v_sub_f16_e32 v62, v78, v62
	v_add_f16_e32 v78, v81, v87
	v_sub_f16_e32 v81, v81, v87
	v_add_f16_e32 v87, v40, v86
	v_sub_f16_e32 v40, v40, v86
	v_add_f16_e32 v86, v84, v88
	v_sub_f16_e32 v84, v84, v88
	v_add_f16_e32 v88, v74, v89
	v_sub_f16_e32 v74, v74, v89
	v_pack_b32_f16 v6, v80, v87
	v_pack_b32_f16 v10, v73, v86
	v_pack_b32_f16 v12, v36, v40
	v_pack_b32_f16 v11, v78, v88
	v_pack_b32_f16 v14, v62, v84
	v_pack_b32_f16 v15, v81, v74
	ds_store_2addr_b32 v4, v7, v9 offset0:144 offset1:244
	ds_store_2addr_b32 v5, v6, v10 offset1:100
	ds_store_2addr_b32 v13, v11, v12 offset0:72 offset1:172
	ds_store_2addr_b32 v25, v14, v15 offset0:144 offset1:244
	v_lshlrev_b32_e32 v15, 2, v27
	v_mul_i32_i24_e32 v25, 5, v20
	global_wb scope:SCOPE_SE
	s_wait_dscnt 0x0
	s_barrier_signal -1
	s_barrier_wait -1
	global_inv scope:SCOPE_SE
	global_load_b128 v[9:12], v15, s[4:5] offset:2360
	v_lshlrev_b64_e32 v[4:5], 2, v[25:26]
	v_mul_i32_i24_e32 v25, 5, v24
	s_delay_alu instid0(VALU_DEP_2) | instskip(SKIP_1) | instid1(VALU_DEP_3)
	v_add_co_u32 v4, s0, s4, v4
	s_wait_alu 0xf1ff
	v_add_co_ci_u32_e64 v5, s0, s5, v5, s0
	s_delay_alu instid0(VALU_DEP_3)
	v_lshlrev_b64_e32 v[6:7], 2, v[25:26]
	v_mul_i32_i24_e32 v25, 5, v23
	global_load_b128 v[27:30], v[4:5], off offset:2360
	v_add_co_u32 v6, s0, s4, v6
	s_wait_alu 0xf1ff
	v_add_co_ci_u32_e64 v7, s0, s5, v7, s0
	v_lshlrev_b64_e32 v[13:14], 2, v[25:26]
	v_mul_i32_i24_e32 v25, 5, v22
	global_load_b128 v[31:34], v[6:7], off offset:2360
	v_add_co_u32 v13, s0, s4, v13
	s_wait_alu 0xf1ff
	v_add_co_ci_u32_e64 v14, s0, s5, v14, s0
	s_clause 0x2
	global_load_b128 v[35:38], v[13:14], off offset:2360
	global_load_b32 v66, v15, s[4:5] offset:2376
	global_load_b32 v67, v[4:5], off offset:2376
	v_lshlrev_b64_e32 v[4:5], 2, v[25:26]
	s_clause 0x1
	global_load_b32 v7, v[6:7], off offset:2376
	global_load_b32 v25, v[13:14], off offset:2376
	v_add_co_u32 v4, s0, s4, v4
	s_wait_alu 0xf1ff
	v_add_co_ci_u32_e64 v5, s0, s5, v5, s0
	s_clause 0x1
	global_load_b128 v[39:42], v[4:5], off offset:2360
	global_load_b32 v68, v[4:5], off offset:2376
	ds_load_b32 v69, v43
	ds_load_2addr_b32 v[13:14], v54 offset0:104 offset1:224
	ds_load_2addr_b32 v[56:57], v3 offset0:56 offset1:176
	ds_load_b32 v70, v48
	ds_load_2addr_b32 v[58:59], v51 offset0:88 offset1:208
	ds_load_2addr_b32 v[51:52], v52 offset0:40 offset1:160
	;; [unrolled: 1-line block ×4, first 2 shown]
	ds_load_b32 v5, v47
	ds_load_2addr_b32 v[62:63], v55 offset0:56 offset1:176
	ds_load_b32 v3, v2
	ds_load_b32 v4, v46
	ds_load_b32 v21, v43 offset:13920
	ds_load_2addr_b32 v[64:65], v49 offset0:72 offset1:192
	ds_load_2addr_b32 v[49:50], v50 offset0:120 offset1:240
	s_wait_dscnt 0xe
	v_lshrrev_b32_e32 v55, 16, v69
	s_wait_dscnt 0xd
	v_lshrrev_b32_e32 v15, 16, v14
	;; [unrolled: 2-line block ×3, first 2 shown]
	v_lshrrev_b32_e32 v77, 16, v57
	s_wait_dscnt 0xa
	v_lshrrev_b32_e32 v79, 16, v58
	v_lshrrev_b32_e32 v73, 16, v59
	s_wait_dscnt 0x8
	v_lshrrev_b32_e32 v86, 16, v60
	;; [unrolled: 3-line block ×3, first 2 shown]
	s_wait_dscnt 0x5
	v_lshrrev_b32_e32 v81, 16, v63
	v_lshrrev_b32_e32 v74, 16, v51
	;; [unrolled: 1-line block ×4, first 2 shown]
	s_wait_loadcnt 0x9
	v_lshrrev_b32_e32 v78, 16, v9
	v_lshrrev_b32_e32 v80, 16, v10
	;; [unrolled: 1-line block ×4, first 2 shown]
	s_delay_alu instid0(VALU_DEP_4) | instskip(SKIP_3) | instid1(VALU_DEP_4)
	v_mul_f16_e32 v84, v78, v79
	v_mul_f16_e32 v78, v78, v58
	;; [unrolled: 1-line block ×4, first 2 shown]
	v_fma_f16 v58, v9, v58, -v84
	s_delay_alu instid0(VALU_DEP_4) | instskip(NEXT) | instid1(VALU_DEP_4)
	v_fmac_f16_e32 v78, v9, v79
	v_fma_f16 v63, v10, v63, -v85
	v_mul_f16_e32 v9, v82, v86
	v_fmac_f16_e32 v80, v10, v81
	v_mul_f16_e32 v10, v15, v83
	v_mul_f16_e32 v79, v82, v60
	;; [unrolled: 1-line block ×3, first 2 shown]
	v_fma_f16 v60, v11, v60, -v9
	s_wait_loadcnt 0x8
	v_lshrrev_b32_e32 v9, 16, v27
	v_fma_f16 v82, v14, v12, -v10
	v_lshrrev_b32_e32 v10, 16, v29
	v_fmac_f16_e32 v79, v11, v86
	v_fmac_f16_e32 v81, v15, v12
	v_mul_f16_e32 v11, v73, v9
	v_lshrrev_b32_e32 v84, 16, v52
	v_mul_f16_e32 v12, v75, v10
	v_lshrrev_b32_e32 v14, 16, v28
	s_wait_dscnt 0x1
	v_lshrrev_b32_e32 v83, 16, v64
	v_fma_f16 v85, v59, v27, -v11
	v_mul_f16_e32 v59, v59, v9
	v_fma_f16 v86, v61, v29, -v12
	v_mul_f16_e32 v61, v61, v10
	v_lshrrev_b32_e32 v10, 16, v30
	ds_load_2addr_b32 v[11:12], v8 offset0:24 offset1:144
	v_fmac_f16_e32 v59, v73, v27
	v_mul_f16_e32 v15, v74, v14
	v_fmac_f16_e32 v61, v75, v29
	v_mul_f16_e32 v8, v76, v10
	v_mul_f16_e32 v73, v53, v10
	s_wait_loadcnt 0x7
	v_lshrrev_b32_e32 v10, 16, v32
	s_wait_dscnt 0x1
	v_lshrrev_b32_e32 v9, 16, v49
	v_mul_f16_e32 v87, v51, v14
	v_fma_f16 v29, v53, v30, -v8
	v_fmac_f16_e32 v73, v76, v30
	v_mul_f16_e32 v27, v84, v10
	v_lshrrev_b32_e32 v30, 16, v54
	v_lshrrev_b32_e32 v53, 16, v34
	v_fma_f16 v51, v51, v28, -v15
	ds_load_2addr_b32 v[14:15], v0 offset0:72 offset1:192
	v_fma_f16 v75, v52, v32, -v27
	v_mul_f16_e32 v52, v52, v10
	v_mul_f16_e32 v0, v30, v53
	v_lshrrev_b32_e32 v10, 16, v33
	v_lshrrev_b32_e32 v8, 16, v31
	v_mul_f16_e32 v53, v54, v53
	v_fmac_f16_e32 v87, v74, v28
	v_fma_f16 v76, v54, v34, -v0
	v_mul_f16_e32 v54, v49, v10
	v_mul_f16_e32 v10, v9, v10
	;; [unrolled: 1-line block ×4, first 2 shown]
	ds_load_2addr_b32 v[27:28], v1 offset0:40 offset1:160
	v_lshrrev_b32_e32 v0, 16, v65
	v_fmac_f16_e32 v52, v84, v32
	v_fmac_f16_e32 v54, v9, v33
	s_wait_loadcnt 0x6
	v_lshrrev_b32_e32 v9, 16, v35
	v_fma_f16 v32, v49, v33, -v10
	v_lshrrev_b32_e32 v33, 16, v36
	v_fmac_f16_e32 v74, v83, v31
	s_wait_dscnt 0x2
	v_lshrrev_b32_e32 v1, 16, v11
	v_fmac_f16_e32 v53, v30, v34
	v_lshrrev_b32_e32 v30, 16, v50
	v_fma_f16 v31, v64, v31, -v8
	v_mul_f16_e32 v8, v0, v9
	v_mul_f16_e32 v10, v65, v9
	v_lshrrev_b32_e32 v49, 16, v37
	v_mul_f16_e32 v64, v11, v33
	s_wait_dscnt 0x1
	v_lshrrev_b32_e32 v34, 16, v14
	v_fma_f16 v9, v65, v35, -v8
	v_lshrrev_b32_e32 v8, 16, v38
	v_fmac_f16_e32 v10, v0, v35
	v_mul_f16_e32 v0, v30, v49
	v_mul_f16_e32 v33, v1, v33
	v_fmac_f16_e32 v64, v1, v36
	v_mul_f16_e32 v35, v50, v49
	s_wait_loadcnt 0x5
	v_lshrrev_b32_e32 v1, 16, v66
	v_fma_f16 v49, v50, v37, -v0
	v_mul_f16_e32 v50, v14, v8
	v_mul_f16_e32 v0, v34, v8
	v_fmac_f16_e32 v35, v30, v37
	v_mul_f16_e32 v30, v56, v1
	v_mul_f16_e32 v1, v71, v1
	s_wait_loadcnt 0x3
	v_lshrrev_b32_e32 v37, 16, v7
	s_wait_dscnt 0x0
	v_lshrrev_b32_e32 v65, 16, v27
	v_fmac_f16_e32 v50, v34, v38
	v_lshrrev_b32_e32 v34, 16, v67
	v_fma_f16 v11, v11, v36, -v33
	v_fma_f16 v14, v14, v38, -v0
	v_lshrrev_b32_e32 v33, 16, v28
	v_fma_f16 v38, v56, v66, -v1
	v_mul_f16_e32 v56, v27, v37
	s_wait_loadcnt 0x2
	v_lshrrev_b32_e32 v1, 16, v25
	v_mul_f16_e32 v36, v77, v34
	v_mul_f16_e32 v34, v57, v34
	;; [unrolled: 1-line block ×3, first 2 shown]
	v_fmac_f16_e32 v56, v65, v7
	v_mul_f16_e32 v65, v33, v1
	v_fma_f16 v36, v57, v67, -v36
	v_fmac_f16_e32 v34, v77, v67
	v_lshrrev_b32_e32 v67, 16, v12
	v_fma_f16 v27, v27, v7, -v37
	v_mul_f16_e32 v37, v28, v1
	v_fma_f16 v28, v28, v25, -v65
	s_wait_loadcnt 0x1
	v_lshrrev_b32_e32 v65, 16, v40
	v_fmac_f16_e32 v30, v71, v66
	v_lshrrev_b32_e32 v57, 16, v62
	v_lshrrev_b32_e32 v66, 16, v39
	v_fmac_f16_e32 v37, v33, v25
	v_mul_f16_e32 v33, v67, v65
	v_lshrrev_b32_e32 v25, 16, v15
	v_mul_f16_e32 v65, v12, v65
	v_mul_f16_e32 v1, v57, v66
	;; [unrolled: 1-line block ×3, first 2 shown]
	v_fma_f16 v12, v12, v40, -v33
	v_lshrrev_b32_e32 v33, 16, v42
	v_lshrrev_b32_e32 v71, 16, v13
	v_fma_f16 v1, v62, v39, -v1
	v_lshrrev_b32_e32 v62, 16, v41
	v_lshrrev_b32_e32 v66, 16, v21
	v_fmac_f16_e32 v7, v57, v39
	v_fmac_f16_e32 v65, v67, v40
	v_mul_f16_e32 v40, v25, v33
	v_mul_f16_e32 v33, v15, v33
	s_wait_loadcnt 0x0
	v_lshrrev_b32_e32 v57, 16, v68
	v_mul_f16_e32 v77, v71, v62
	v_mul_f16_e32 v39, v13, v62
	v_fma_f16 v15, v15, v42, -v40
	v_fmac_f16_e32 v33, v25, v42
	v_mul_f16_e32 v25, v66, v57
	v_fma_f16 v13, v13, v41, -v77
	v_fmac_f16_e32 v39, v71, v41
	v_mul_f16_e32 v41, v21, v57
	v_add_f16_e32 v40, v63, v82
	v_fma_f16 v21, v21, v68, -v25
	v_add_f16_e32 v25, v80, v81
	v_add_f16_e32 v42, v69, v63
	v_fmac_f16_e32 v41, v66, v68
	v_add_f16_e32 v62, v55, v80
	v_add_f16_e32 v66, v60, v38
	v_fmac_f16_e32 v55, -0.5, v25
	v_sub_f16_e32 v25, v63, v82
	v_add_f16_e32 v63, v79, v30
	v_add_f16_e32 v67, v58, v60
	v_fmac_f16_e32 v58, -0.5, v66
	v_sub_f16_e32 v66, v79, v30
	v_add_f16_e32 v68, v78, v79
	v_fmac_f16_e32 v78, -0.5, v63
	v_sub_f16_e32 v60, v60, v38
	v_fmac_f16_e32 v69, -0.5, v40
	v_sub_f16_e32 v40, v80, v81
	v_fmamk_f16 v63, v66, 0x3aee, v58
	v_fmac_f16_e32 v58, 0xbaee, v66
	v_fmamk_f16 v71, v60, 0xbaee, v78
	v_fmac_f16_e32 v78, 0x3aee, v60
	;; [unrolled: 2-line block ×3, first 2 shown]
	v_add_f16_e32 v40, v62, v81
	v_fmamk_f16 v62, v25, 0xbaee, v55
	v_fmac_f16_e32 v55, 0x3aee, v25
	v_add_f16_e32 v25, v67, v38
	v_mul_f16_e32 v38, 0x3aee, v71
	v_mul_f16_e32 v60, -0.5, v58
	v_add_f16_e32 v30, v68, v30
	v_mul_f16_e32 v66, 0xbaee, v63
	v_add_f16_e32 v42, v42, v82
	v_mul_f16_e32 v67, -0.5, v78
	v_fmac_f16_e32 v38, 0.5, v63
	v_fmac_f16_e32 v60, 0x3aee, v78
	v_fmac_f16_e32 v66, 0.5, v71
	v_add_f16_e32 v71, v40, v30
	v_sub_f16_e32 v30, v40, v30
	v_add_f16_e32 v40, v70, v51
	v_add_f16_e32 v63, v42, v25
	v_fmac_f16_e32 v67, 0xbaee, v58
	v_add_f16_e32 v58, v57, v38
	v_add_f16_e32 v68, v69, v60
	;; [unrolled: 1-line block ×3, first 2 shown]
	v_sub_f16_e32 v25, v42, v25
	v_add_f16_e32 v42, v51, v29
	v_sub_f16_e32 v38, v57, v38
	v_sub_f16_e32 v57, v69, v60
	;; [unrolled: 1-line block ×3, first 2 shown]
	v_add_f16_e32 v62, v87, v73
	v_add_f16_e32 v40, v40, v29
	;; [unrolled: 1-line block ×3, first 2 shown]
	v_sub_f16_e32 v29, v51, v29
	v_add_f16_e32 v51, v61, v34
	v_add_f16_e32 v78, v55, v67
	v_fmac_f16_e32 v70, -0.5, v42
	v_sub_f16_e32 v42, v87, v73
	v_sub_f16_e32 v55, v55, v67
	v_add_f16_e32 v67, v72, v87
	v_fmac_f16_e32 v72, -0.5, v62
	v_add_f16_e32 v62, v85, v86
	v_fmac_f16_e32 v85, -0.5, v69
	v_sub_f16_e32 v69, v61, v34
	v_add_f16_e32 v61, v59, v61
	v_fmac_f16_e32 v59, -0.5, v51
	v_sub_f16_e32 v51, v86, v36
	v_fmamk_f16 v66, v42, 0x3aee, v70
	v_fmac_f16_e32 v70, 0xbaee, v42
	v_add_f16_e32 v42, v67, v73
	v_fmamk_f16 v73, v69, 0x3aee, v85
	v_fmamk_f16 v79, v51, 0xbaee, v59
	v_fmac_f16_e32 v85, 0xbaee, v69
	v_fmac_f16_e32 v59, 0x3aee, v51
	v_fmamk_f16 v67, v29, 0xbaee, v72
	v_fmac_f16_e32 v72, 0x3aee, v29
	v_add_f16_e32 v29, v62, v36
	v_mul_f16_e32 v36, 0x3aee, v79
	v_mul_f16_e32 v51, -0.5, v85
	v_mul_f16_e32 v62, -0.5, v59
	v_add_f16_e32 v34, v61, v34
	v_mul_f16_e32 v61, 0xbaee, v73
	v_fmac_f16_e32 v36, 0.5, v73
	v_fmac_f16_e32 v51, 0x3aee, v59
	v_fmac_f16_e32 v62, 0xbaee, v85
	v_add_f16_e32 v59, v40, v29
	v_sub_f16_e32 v29, v40, v29
	v_add_f16_e32 v69, v66, v36
	v_add_f16_e32 v73, v70, v51
	;; [unrolled: 1-line block ×4, first 2 shown]
	v_sub_f16_e32 v36, v66, v36
	v_sub_f16_e32 v51, v70, v51
	;; [unrolled: 1-line block ×3, first 2 shown]
	v_add_f16_e32 v66, v52, v53
	v_add_f16_e32 v70, v32, v27
	;; [unrolled: 1-line block ×3, first 2 shown]
	v_fmac_f16_e32 v61, 0.5, v79
	v_add_f16_e32 v79, v42, v34
	v_sub_f16_e32 v34, v42, v34
	v_add_f16_e32 v42, v5, v75
	v_fmac_f16_e32 v5, -0.5, v40
	v_sub_f16_e32 v40, v52, v53
	v_add_f16_e32 v52, v6, v52
	v_fmac_f16_e32 v6, -0.5, v66
	;; [unrolled: 3-line block ×4, first 2 shown]
	v_sub_f16_e32 v32, v32, v27
	v_add_f16_e32 v80, v67, v61
	v_sub_f16_e32 v61, v67, v61
	v_fmamk_f16 v67, v40, 0x3aee, v5
	v_fmac_f16_e32 v5, 0xbaee, v40
	v_add_f16_e32 v40, v52, v53
	v_fmamk_f16 v53, v70, 0x3aee, v31
	v_fmamk_f16 v72, v32, 0xbaee, v74
	v_fmac_f16_e32 v31, 0xbaee, v70
	v_fmamk_f16 v52, v66, 0xbaee, v6
	v_fmac_f16_e32 v6, 0x3aee, v66
	v_fmac_f16_e32 v74, 0x3aee, v32
	v_mul_f16_e32 v32, 0x3aee, v72
	v_mul_f16_e32 v66, -0.5, v31
	v_add_f16_e32 v54, v54, v56
	v_mul_f16_e32 v56, 0xbaee, v53
	v_add_f16_e32 v42, v42, v76
	v_add_f16_e32 v27, v75, v27
	v_mul_f16_e32 v70, -0.5, v74
	v_fmac_f16_e32 v32, 0.5, v53
	v_fmac_f16_e32 v66, 0x3aee, v74
	v_fmac_f16_e32 v56, 0.5, v72
	v_add_f16_e32 v74, v40, v54
	v_sub_f16_e32 v40, v40, v54
	v_add_f16_e32 v54, v4, v11
	v_lshrrev_b32_e32 v8, 16, v4
	v_add_f16_e32 v53, v42, v27
	v_fmac_f16_e32 v70, 0xbaee, v31
	v_add_f16_e32 v31, v67, v32
	v_add_f16_e32 v75, v52, v56
	v_sub_f16_e32 v27, v42, v27
	v_add_f16_e32 v42, v11, v14
	v_sub_f16_e32 v32, v67, v32
	v_sub_f16_e32 v52, v52, v56
	v_add_f16_e32 v56, v64, v50
	v_add_f16_e32 v54, v54, v14
	;; [unrolled: 1-line block ×3, first 2 shown]
	v_sub_f16_e32 v11, v11, v14
	v_add_f16_e32 v14, v35, v37
	v_fmac_f16_e32 v4, -0.5, v42
	v_sub_f16_e32 v42, v64, v50
	v_add_f16_e32 v64, v8, v64
	v_fmac_f16_e32 v8, -0.5, v56
	v_add_f16_e32 v56, v9, v49
	v_fmac_f16_e32 v9, -0.5, v67
	v_sub_f16_e32 v67, v35, v37
	v_add_f16_e32 v35, v10, v35
	v_fmac_f16_e32 v10, -0.5, v14
	v_sub_f16_e32 v14, v49, v28
	v_add_f16_e32 v72, v5, v66
	v_sub_f16_e32 v5, v5, v66
	v_fmamk_f16 v66, v42, 0x3aee, v4
	v_fmac_f16_e32 v4, 0xbaee, v42
	v_add_f16_e32 v42, v64, v50
	v_fmamk_f16 v50, v67, 0x3aee, v9
	v_fmamk_f16 v64, v14, 0xbaee, v10
	v_fmac_f16_e32 v9, 0xbaee, v67
	v_fmac_f16_e32 v10, 0x3aee, v14
	v_fmamk_f16 v49, v11, 0xbaee, v8
	v_fmac_f16_e32 v8, 0x3aee, v11
	v_add_f16_e32 v11, v56, v28
	v_mul_f16_e32 v28, -0.5, v9
	v_add_f16_e32 v35, v35, v37
	v_mul_f16_e32 v37, 0xbaee, v50
	v_mul_f16_e32 v56, -0.5, v10
	v_lshrrev_b32_e32 v0, 16, v3
	v_mul_f16_e32 v14, 0x3aee, v64
	v_fmac_f16_e32 v28, 0x3aee, v10
	v_fmac_f16_e32 v37, 0.5, v64
	v_fmac_f16_e32 v56, 0xbaee, v9
	v_add_f16_e32 v76, v6, v70
	v_sub_f16_e32 v6, v6, v70
	v_fmac_f16_e32 v14, 0.5, v50
	v_add_f16_e32 v10, v54, v11
	v_add_f16_e32 v50, v4, v28
	;; [unrolled: 1-line block ×5, first 2 shown]
	v_sub_f16_e32 v11, v54, v11
	v_add_f16_e32 v54, v12, v15
	v_sub_f16_e32 v4, v4, v28
	v_sub_f16_e32 v28, v42, v35
	v_add_f16_e32 v35, v3, v12
	v_sub_f16_e32 v42, v65, v33
	v_sub_f16_e32 v37, v49, v37
	;; [unrolled: 1-line block ×3, first 2 shown]
	v_add_f16_e32 v49, v65, v33
	v_add_f16_e32 v56, v0, v65
	;; [unrolled: 1-line block ×3, first 2 shown]
	v_fmac_f16_e32 v3, -0.5, v54
	v_add_f16_e32 v35, v35, v15
	v_fmac_f16_e32 v0, -0.5, v49
	v_sub_f16_e32 v12, v12, v15
	v_add_f16_e32 v15, v39, v41
	v_add_f16_e32 v49, v1, v13
	v_fmac_f16_e32 v1, -0.5, v65
	v_sub_f16_e32 v65, v39, v41
	v_fmamk_f16 v54, v42, 0x3aee, v3
	v_add_f16_e32 v39, v7, v39
	v_fmac_f16_e32 v7, -0.5, v15
	v_sub_f16_e32 v13, v13, v21
	v_fmac_f16_e32 v3, 0xbaee, v42
	v_fmamk_f16 v42, v65, 0x3aee, v1
	v_fmac_f16_e32 v1, 0xbaee, v65
	v_add_f16_e32 v15, v56, v33
	v_fmamk_f16 v33, v12, 0xbaee, v0
	v_fmamk_f16 v56, v13, 0xbaee, v7
	v_fmac_f16_e32 v0, 0x3aee, v12
	v_add_f16_e32 v12, v49, v21
	v_fmac_f16_e32 v7, 0x3aee, v13
	v_mul_f16_e32 v21, -0.5, v1
	v_add_f16_e32 v39, v39, v41
	v_mul_f16_e32 v41, 0xbaee, v42
	v_mul_f16_e32 v13, 0x3aee, v56
	v_mul_f16_e32 v49, -0.5, v7
	v_fmac_f16_e32 v21, 0x3aee, v7
	v_add_f16_e32 v7, v35, v12
	v_fmac_f16_e32 v41, 0.5, v56
	v_fmac_f16_e32 v13, 0.5, v42
	v_sub_f16_e32 v12, v35, v12
	v_add_f16_e32 v42, v3, v21
	v_sub_f16_e32 v3, v3, v21
	v_add_f16_e32 v65, v33, v41
	v_sub_f16_e32 v21, v33, v41
	v_pack_b32_f16 v33, v63, v71
	v_pack_b32_f16 v35, v58, v77
	v_add_f16_e32 v56, v15, v39
	v_sub_f16_e32 v15, v15, v39
	v_pack_b32_f16 v39, v68, v78
	v_pack_b32_f16 v25, v25, v30
	;; [unrolled: 1-line block ×3, first 2 shown]
	global_wb scope:SCOPE_SE
	s_barrier_signal -1
	s_barrier_wait -1
	global_inv scope:SCOPE_SE
	v_pack_b32_f16 v38, v57, v55
	ds_store_b32 v43, v33
	ds_store_b32 v43, v35 offset:2400
	ds_store_b32 v43, v39 offset:4800
	;; [unrolled: 1-line block ×5, first 2 shown]
	v_pack_b32_f16 v25, v59, v79
	v_pack_b32_f16 v30, v69, v80
	;; [unrolled: 1-line block ×6, first 2 shown]
	ds_store_b32 v48, v25
	ds_store_b32 v48, v30 offset:2400
	ds_store_b32 v48, v33 offset:4800
	;; [unrolled: 1-line block ×5, first 2 shown]
	v_pack_b32_f16 v25, v53, v74
	v_add_f16_e32 v9, v66, v14
	v_pack_b32_f16 v29, v31, v75
	v_fmac_f16_e32 v49, 0xbaee, v1
	v_pack_b32_f16 v30, v72, v76
	v_pack_b32_f16 v27, v27, v40
	v_sub_f16_e32 v14, v66, v14
	v_pack_b32_f16 v31, v32, v52
	v_pack_b32_f16 v5, v5, v6
	ds_store_b32 v47, v25
	ds_store_b32 v47, v29 offset:2400
	ds_store_b32 v47, v30 offset:4800
	ds_store_b32 v47, v27 offset:7200
	ds_store_b32 v47, v31 offset:9600
	ds_store_b32 v47, v5 offset:12000
	v_pack_b32_f16 v5, v10, v64
	v_add_f16_e32 v1, v54, v13
	v_pack_b32_f16 v6, v9, v67
	v_add_f16_e32 v66, v0, v49
	v_pack_b32_f16 v9, v50, v70
	v_pack_b32_f16 v10, v11, v28
	v_sub_f16_e32 v13, v54, v13
	v_pack_b32_f16 v11, v14, v37
	v_pack_b32_f16 v4, v4, v8
	v_sub_f16_e32 v0, v0, v49
	ds_store_b32 v46, v5
	ds_store_b32 v46, v6 offset:2400
	ds_store_b32 v46, v9 offset:4800
	;; [unrolled: 1-line block ×5, first 2 shown]
	v_pack_b32_f16 v4, v7, v56
	v_pack_b32_f16 v1, v1, v65
	;; [unrolled: 1-line block ×6, first 2 shown]
	ds_store_b32 v2, v4
	ds_store_b32 v2, v1 offset:2400
	ds_store_b32 v2, v5 offset:4800
	;; [unrolled: 1-line block ×5, first 2 shown]
	global_wb scope:SCOPE_SE
	s_wait_dscnt 0x0
	s_barrier_signal -1
	s_barrier_wait -1
	global_inv scope:SCOPE_SE
	ds_load_b32 v9, v43
	v_sub_nc_u32_e32 v3, 0, v17
                                        ; implicit-def: $vgpr7
                                        ; implicit-def: $vgpr6
                                        ; implicit-def: $vgpr5
                                        ; implicit-def: $vgpr0_vgpr1
	s_wait_dscnt 0x0
	v_lshrrev_b32_e32 v10, 16, v9
	v_cmpx_ne_u32_e32 0, v16
	s_wait_alu 0xfffe
	s_xor_b32 s1, exec_lo, s1
	s_cbranch_execz .LBB0_15
; %bb.14:
	v_mov_b32_e32 v17, v26
	s_delay_alu instid0(VALU_DEP_1) | instskip(NEXT) | instid1(VALU_DEP_1)
	v_lshlrev_b64_e32 v[0:1], 2, v[16:17]
	v_add_co_u32 v0, s0, s4, v0
	s_wait_alu 0xf1ff
	s_delay_alu instid0(VALU_DEP_2)
	v_add_co_ci_u32_e64 v1, s0, s5, v1, s0
	global_load_b32 v0, v[0:1], off offset:14360
	ds_load_b32 v1, v3 offset:14400
	s_wait_dscnt 0x0
	v_sub_f16_e32 v5, v9, v1
	v_lshrrev_b32_e32 v4, 16, v1
	v_add_f16_e32 v1, v1, v9
	s_delay_alu instid0(VALU_DEP_3) | instskip(NEXT) | instid1(VALU_DEP_3)
	v_mul_f16_e32 v7, 0.5, v5
	v_add_f16_e32 v6, v4, v10
	v_sub_f16_e32 v4, v10, v4
	s_delay_alu instid0(VALU_DEP_2) | instskip(NEXT) | instid1(VALU_DEP_2)
	v_mul_f16_e32 v6, 0.5, v6
	v_mul_f16_e32 v4, 0.5, v4
	s_wait_loadcnt 0x0
	v_lshrrev_b32_e32 v5, 16, v0
	s_delay_alu instid0(VALU_DEP_1) | instskip(NEXT) | instid1(VALU_DEP_3)
	v_mul_f16_e32 v8, v5, v7
	v_fma_f16 v9, v6, v5, v4
	v_fma_f16 v4, v6, v5, -v4
	s_delay_alu instid0(VALU_DEP_3) | instskip(SKIP_1) | instid1(VALU_DEP_4)
	v_fma_f16 v10, 0.5, v1, v8
	v_fma_f16 v1, v1, 0.5, -v8
	v_fma_f16 v5, -v0, v7, v9
	s_delay_alu instid0(VALU_DEP_4) | instskip(NEXT) | instid1(VALU_DEP_4)
	v_fma_f16 v7, -v0, v7, v4
                                        ; implicit-def: $vgpr9
	v_fmac_f16_e32 v10, v0, v6
	s_delay_alu instid0(VALU_DEP_4)
	v_fma_f16 v6, -v0, v6, v1
	v_dual_mov_b32 v0, v16 :: v_dual_mov_b32 v1, v17
	ds_store_b16 v43, v10
                                        ; implicit-def: $vgpr10
.LBB0_15:
	s_wait_alu 0xfffe
	s_or_saveexec_b32 s0, s1
	v_mul_i32_i24_e32 v8, 0xffffffdc, v20
	v_mul_i32_i24_e32 v4, 0xffffffdc, v24
	s_wait_alu 0xfffe
	s_xor_b32 exec_lo, exec_lo, s0
	s_cbranch_execz .LBB0_17
; %bb.16:
	v_mov_b32_e32 v5, 0
	v_add_f16_e32 v11, v10, v9
	v_sub_f16_e32 v6, v9, v10
	v_mov_b32_e32 v7, 0
	ds_load_u16 v0, v5 offset:7202
	s_wait_dscnt 0x0
	v_xor_b32_e32 v9, 0x8000, v0
	v_mov_b32_e32 v0, 0
	v_mov_b32_e32 v1, 0
	ds_store_b16 v43, v11
	ds_store_b16 v5, v9 offset:7202
.LBB0_17:
	s_or_b32 exec_lo, exec_lo, s0
	v_dual_mov_b32 v21, 0 :: v_dual_add_nc_u32 v4, v44, v4
	v_lshlrev_b64_e32 v[0:1], 2, v[0:1]
	v_perm_b32 v6, v7, v6, 0x5040100
	v_add_nc_u32_e32 v7, v45, v8
	s_delay_alu instid0(VALU_DEP_4)
	v_lshlrev_b64_e32 v[9:10], 2, v[20:21]
	v_mov_b32_e32 v25, v21
	ds_store_b16 v43, v5 offset:2
	ds_store_b32 v3, v6 offset:14400
	ds_load_b32 v5, v3 offset:13920
	ds_load_b32 v6, v7
	v_add_co_u32 v9, s0, s4, v9
	s_wait_alu 0xf1ff
	v_add_co_ci_u32_e64 v10, s0, s5, v10, s0
	global_load_b32 v11, v[9:10], off offset:14360
	v_lshlrev_b64_e32 v[9:10], 2, v[24:25]
	v_mov_b32_e32 v24, v21
	s_delay_alu instid0(VALU_DEP_2) | instskip(SKIP_1) | instid1(VALU_DEP_3)
	v_add_co_u32 v9, s0, s4, v9
	s_wait_alu 0xf1ff
	v_add_co_ci_u32_e64 v10, s0, s5, v10, s0
	s_wait_dscnt 0x0
	v_pk_add_f16 v17, v6, v5 neg_lo:[0,1] neg_hi:[0,1]
	v_pk_add_f16 v5, v6, v5
	global_load_b32 v12, v[9:10], off offset:14360
	v_lshlrev_b64_e32 v[9:10], 2, v[23:24]
	v_mov_b32_e32 v23, v21
	v_bfi_b32 v6, 0xffff, v17, v5
	v_bfi_b32 v5, 0xffff, v5, v17
	s_delay_alu instid0(VALU_DEP_4)
	v_add_co_u32 v9, s0, s4, v9
	s_wait_alu 0xf1ff
	v_add_co_ci_u32_e64 v10, s0, s5, v10, s0
	v_pk_mul_f16 v6, v6, 0.5 op_sel_hi:[1,0]
	v_pk_mul_f16 v5, v5, 0.5 op_sel_hi:[1,0]
	global_load_b32 v13, v[9:10], off offset:14360
	v_lshlrev_b64_e32 v[9:10], 2, v[22:23]
	s_delay_alu instid0(VALU_DEP_1) | instskip(SKIP_1) | instid1(VALU_DEP_2)
	v_add_co_u32 v9, s0, s4, v9
	s_wait_alu 0xf1ff
	v_add_co_ci_u32_e64 v10, s0, s5, v10, s0
	s_add_nc_u64 s[0:1], s[4:5], 0x3818
	global_load_b32 v14, v[9:10], off offset:14360
	s_wait_alu 0xfffe
	v_add_co_u32 v9, s0, s0, v0
	s_wait_alu 0xf1ff
	v_add_co_ci_u32_e64 v10, s0, s1, v1, s0
	s_clause 0x1
	global_load_b32 v15, v[9:10], off offset:2400
	global_load_b32 v8, v[9:10], off offset:2880
	s_wait_loadcnt 0x5
	v_pk_fma_f16 v17, v11, v6, v5 op_sel:[1,0,0]
	v_pk_mul_f16 v20, v11, v6 op_sel_hi:[0,1]
	v_pk_fma_f16 v21, v11, v6, v5 op_sel:[1,0,0] neg_lo:[1,0,0] neg_hi:[1,0,0]
	v_pk_fma_f16 v5, v11, v6, v5 op_sel:[1,0,0] neg_lo:[0,0,1] neg_hi:[0,0,1]
	s_delay_alu instid0(VALU_DEP_3) | instskip(SKIP_1) | instid1(VALU_DEP_4)
	v_pk_add_f16 v6, v17, v20 op_sel:[0,1] op_sel_hi:[1,0]
	v_pk_add_f16 v11, v17, v20 op_sel:[0,1] op_sel_hi:[1,0] neg_lo:[0,1] neg_hi:[0,1]
	v_pk_add_f16 v17, v21, v20 op_sel:[0,1] op_sel_hi:[1,0] neg_lo:[0,1] neg_hi:[0,1]
	s_delay_alu instid0(VALU_DEP_4) | instskip(NEXT) | instid1(VALU_DEP_3)
	v_pk_add_f16 v5, v5, v20 op_sel:[0,1] op_sel_hi:[1,0] neg_lo:[0,1] neg_hi:[0,1]
	v_bfi_b32 v6, 0xffff, v6, v11
	s_delay_alu instid0(VALU_DEP_2)
	v_bfi_b32 v5, 0xffff, v17, v5
	ds_store_b32 v7, v6
	ds_store_b32 v3, v5 offset:13920
	ds_load_b32 v5, v4
	ds_load_b32 v6, v3 offset:13440
	global_load_b32 v7, v[9:10], off offset:3360
	s_wait_dscnt 0x0
	v_pk_add_f16 v11, v5, v6 neg_lo:[0,1] neg_hi:[0,1]
	v_pk_add_f16 v5, v5, v6
	s_delay_alu instid0(VALU_DEP_1) | instskip(SKIP_1) | instid1(VALU_DEP_2)
	v_bfi_b32 v6, 0xffff, v11, v5
	v_bfi_b32 v5, 0xffff, v5, v11
	v_pk_mul_f16 v6, v6, 0.5 op_sel_hi:[1,0]
	s_delay_alu instid0(VALU_DEP_2) | instskip(SKIP_1) | instid1(VALU_DEP_2)
	v_pk_mul_f16 v5, v5, 0.5 op_sel_hi:[1,0]
	s_wait_loadcnt 0x5
	v_pk_mul_f16 v17, v12, v6 op_sel_hi:[0,1]
	s_delay_alu instid0(VALU_DEP_2) | instskip(SKIP_2) | instid1(VALU_DEP_3)
	v_pk_fma_f16 v11, v12, v6, v5 op_sel:[1,0,0]
	v_pk_fma_f16 v20, v12, v6, v5 op_sel:[1,0,0] neg_lo:[1,0,0] neg_hi:[1,0,0]
	v_pk_fma_f16 v5, v12, v6, v5 op_sel:[1,0,0] neg_lo:[0,0,1] neg_hi:[0,0,1]
	v_pk_add_f16 v6, v11, v17 op_sel:[0,1] op_sel_hi:[1,0]
	v_pk_add_f16 v11, v11, v17 op_sel:[0,1] op_sel_hi:[1,0] neg_lo:[0,1] neg_hi:[0,1]
	s_delay_alu instid0(VALU_DEP_4) | instskip(NEXT) | instid1(VALU_DEP_4)
	v_pk_add_f16 v12, v20, v17 op_sel:[0,1] op_sel_hi:[1,0] neg_lo:[0,1] neg_hi:[0,1]
	v_pk_add_f16 v5, v5, v17 op_sel:[0,1] op_sel_hi:[1,0] neg_lo:[0,1] neg_hi:[0,1]
	s_delay_alu instid0(VALU_DEP_3) | instskip(NEXT) | instid1(VALU_DEP_2)
	v_bfi_b32 v6, 0xffff, v6, v11
	v_bfi_b32 v5, 0xffff, v12, v5
	ds_store_b32 v4, v6
	ds_store_b32 v3, v5 offset:13440
	ds_load_b32 v4, v46
	ds_load_b32 v5, v3 offset:12960
	global_load_b32 v6, v[9:10], off offset:3840
	s_wait_dscnt 0x0
	v_pk_add_f16 v11, v4, v5 neg_lo:[0,1] neg_hi:[0,1]
	v_pk_add_f16 v4, v4, v5
	s_delay_alu instid0(VALU_DEP_1)
	v_bfi_b32 v5, 0xffff, v11, v4
	v_bfi_b32 v4, 0xffff, v4, v11
	s_clause 0x1
	global_load_b32 v11, v[9:10], off offset:4320
	global_load_b32 v12, v[9:10], off offset:4800
	v_pk_mul_f16 v5, v5, 0.5 op_sel_hi:[1,0]
	v_pk_mul_f16 v4, v4, 0.5 op_sel_hi:[1,0]
	s_wait_loadcnt 0x7
	s_delay_alu instid0(VALU_DEP_2) | instskip(NEXT) | instid1(VALU_DEP_2)
	v_pk_mul_f16 v20, v13, v5 op_sel_hi:[0,1]
	v_pk_fma_f16 v17, v13, v5, v4 op_sel:[1,0,0]
	v_pk_fma_f16 v21, v13, v5, v4 op_sel:[1,0,0] neg_lo:[1,0,0] neg_hi:[1,0,0]
	v_pk_fma_f16 v4, v13, v5, v4 op_sel:[1,0,0] neg_lo:[0,0,1] neg_hi:[0,0,1]
	s_delay_alu instid0(VALU_DEP_3) | instskip(SKIP_1) | instid1(VALU_DEP_4)
	v_pk_add_f16 v5, v17, v20 op_sel:[0,1] op_sel_hi:[1,0]
	v_pk_add_f16 v13, v17, v20 op_sel:[0,1] op_sel_hi:[1,0] neg_lo:[0,1] neg_hi:[0,1]
	v_pk_add_f16 v17, v21, v20 op_sel:[0,1] op_sel_hi:[1,0] neg_lo:[0,1] neg_hi:[0,1]
	s_delay_alu instid0(VALU_DEP_4) | instskip(NEXT) | instid1(VALU_DEP_3)
	v_pk_add_f16 v4, v4, v20 op_sel:[0,1] op_sel_hi:[1,0] neg_lo:[0,1] neg_hi:[0,1]
	v_bfi_b32 v5, 0xffff, v5, v13
	s_delay_alu instid0(VALU_DEP_2)
	v_bfi_b32 v4, 0xffff, v17, v4
	ds_store_b32 v46, v5
	ds_store_b32 v3, v4 offset:12960
	ds_load_b32 v4, v2
	ds_load_b32 v5, v3 offset:12480
	s_wait_dscnt 0x0
	v_pk_add_f16 v13, v4, v5 neg_lo:[0,1] neg_hi:[0,1]
	v_pk_add_f16 v4, v4, v5
	s_delay_alu instid0(VALU_DEP_1) | instskip(SKIP_1) | instid1(VALU_DEP_2)
	v_bfi_b32 v5, 0xffff, v13, v4
	v_bfi_b32 v4, 0xffff, v4, v13
	v_pk_mul_f16 v5, v5, 0.5 op_sel_hi:[1,0]
	s_delay_alu instid0(VALU_DEP_2) | instskip(SKIP_1) | instid1(VALU_DEP_2)
	v_pk_mul_f16 v4, v4, 0.5 op_sel_hi:[1,0]
	s_wait_loadcnt 0x6
	v_pk_mul_f16 v17, v14, v5 op_sel_hi:[0,1]
	s_delay_alu instid0(VALU_DEP_2) | instskip(SKIP_2) | instid1(VALU_DEP_3)
	v_pk_fma_f16 v13, v14, v5, v4 op_sel:[1,0,0]
	v_pk_fma_f16 v20, v14, v5, v4 op_sel:[1,0,0] neg_lo:[1,0,0] neg_hi:[1,0,0]
	v_pk_fma_f16 v4, v14, v5, v4 op_sel:[1,0,0] neg_lo:[0,0,1] neg_hi:[0,0,1]
	v_pk_add_f16 v5, v13, v17 op_sel:[0,1] op_sel_hi:[1,0]
	v_pk_add_f16 v13, v13, v17 op_sel:[0,1] op_sel_hi:[1,0] neg_lo:[0,1] neg_hi:[0,1]
	s_delay_alu instid0(VALU_DEP_4) | instskip(NEXT) | instid1(VALU_DEP_4)
	v_pk_add_f16 v14, v20, v17 op_sel:[0,1] op_sel_hi:[1,0] neg_lo:[0,1] neg_hi:[0,1]
	v_pk_add_f16 v4, v4, v17 op_sel:[0,1] op_sel_hi:[1,0] neg_lo:[0,1] neg_hi:[0,1]
	s_delay_alu instid0(VALU_DEP_3) | instskip(NEXT) | instid1(VALU_DEP_2)
	v_bfi_b32 v5, 0xffff, v5, v13
	v_bfi_b32 v4, 0xffff, v14, v4
	ds_store_b32 v2, v5
	ds_store_b32 v3, v4 offset:12480
	ds_load_b32 v2, v43 offset:2400
	ds_load_b32 v4, v3 offset:12000
	s_wait_dscnt 0x0
	v_pk_add_f16 v5, v2, v4 neg_lo:[0,1] neg_hi:[0,1]
	v_pk_add_f16 v2, v2, v4
	s_delay_alu instid0(VALU_DEP_1) | instskip(SKIP_1) | instid1(VALU_DEP_2)
	v_bfi_b32 v4, 0xffff, v5, v2
	v_bfi_b32 v2, 0xffff, v2, v5
	v_pk_mul_f16 v4, v4, 0.5 op_sel_hi:[1,0]
	s_delay_alu instid0(VALU_DEP_2) | instskip(SKIP_1) | instid1(VALU_DEP_2)
	v_pk_mul_f16 v2, v2, 0.5 op_sel_hi:[1,0]
	s_wait_loadcnt 0x5
	v_pk_mul_f16 v13, v15, v4 op_sel_hi:[0,1]
	s_delay_alu instid0(VALU_DEP_2) | instskip(SKIP_2) | instid1(VALU_DEP_3)
	v_pk_fma_f16 v5, v15, v4, v2 op_sel:[1,0,0]
	v_pk_fma_f16 v14, v15, v4, v2 op_sel:[1,0,0] neg_lo:[1,0,0] neg_hi:[1,0,0]
	v_pk_fma_f16 v2, v15, v4, v2 op_sel:[1,0,0] neg_lo:[0,0,1] neg_hi:[0,0,1]
	v_pk_add_f16 v4, v5, v13 op_sel:[0,1] op_sel_hi:[1,0]
	v_pk_add_f16 v5, v5, v13 op_sel:[0,1] op_sel_hi:[1,0] neg_lo:[0,1] neg_hi:[0,1]
	s_delay_alu instid0(VALU_DEP_4) | instskip(NEXT) | instid1(VALU_DEP_4)
	v_pk_add_f16 v14, v14, v13 op_sel:[0,1] op_sel_hi:[1,0] neg_lo:[0,1] neg_hi:[0,1]
	v_pk_add_f16 v2, v2, v13 op_sel:[0,1] op_sel_hi:[1,0] neg_lo:[0,1] neg_hi:[0,1]
	s_delay_alu instid0(VALU_DEP_3) | instskip(NEXT) | instid1(VALU_DEP_2)
	v_bfi_b32 v4, 0xffff, v4, v5
	v_bfi_b32 v2, 0xffff, v14, v2
	ds_store_b32 v43, v4 offset:2400
	ds_store_b32 v3, v2 offset:12000
	ds_load_b32 v2, v43 offset:2880
	ds_load_b32 v4, v3 offset:11520
	global_load_b32 v5, v[9:10], off offset:5280
	s_wait_dscnt 0x0
	v_pk_add_f16 v13, v2, v4 neg_lo:[0,1] neg_hi:[0,1]
	v_pk_add_f16 v2, v2, v4
	s_delay_alu instid0(VALU_DEP_1) | instskip(SKIP_1) | instid1(VALU_DEP_2)
	v_bfi_b32 v4, 0xffff, v13, v2
	v_bfi_b32 v2, 0xffff, v2, v13
	v_pk_mul_f16 v4, v4, 0.5 op_sel_hi:[1,0]
	s_delay_alu instid0(VALU_DEP_2) | instskip(SKIP_1) | instid1(VALU_DEP_2)
	v_pk_mul_f16 v2, v2, 0.5 op_sel_hi:[1,0]
	s_wait_loadcnt 0x5
	v_pk_mul_f16 v14, v8, v4 op_sel_hi:[0,1]
	s_delay_alu instid0(VALU_DEP_2) | instskip(SKIP_2) | instid1(VALU_DEP_3)
	v_pk_fma_f16 v13, v8, v4, v2 op_sel:[1,0,0]
	v_pk_fma_f16 v15, v8, v4, v2 op_sel:[1,0,0] neg_lo:[1,0,0] neg_hi:[1,0,0]
	v_pk_fma_f16 v2, v8, v4, v2 op_sel:[1,0,0] neg_lo:[0,0,1] neg_hi:[0,0,1]
	v_pk_add_f16 v4, v13, v14 op_sel:[0,1] op_sel_hi:[1,0]
	v_pk_add_f16 v8, v13, v14 op_sel:[0,1] op_sel_hi:[1,0] neg_lo:[0,1] neg_hi:[0,1]
	s_delay_alu instid0(VALU_DEP_4) | instskip(NEXT) | instid1(VALU_DEP_4)
	v_pk_add_f16 v13, v15, v14 op_sel:[0,1] op_sel_hi:[1,0] neg_lo:[0,1] neg_hi:[0,1]
	v_pk_add_f16 v2, v2, v14 op_sel:[0,1] op_sel_hi:[1,0] neg_lo:[0,1] neg_hi:[0,1]
	s_delay_alu instid0(VALU_DEP_3) | instskip(NEXT) | instid1(VALU_DEP_2)
	v_bfi_b32 v4, 0xffff, v4, v8
	v_bfi_b32 v2, 0xffff, v13, v2
	ds_store_b32 v43, v4 offset:2880
	ds_store_b32 v3, v2 offset:11520
	ds_load_b32 v2, v43 offset:3360
	ds_load_b32 v4, v3 offset:11040
	global_load_b32 v8, v[9:10], off offset:5760
	s_wait_dscnt 0x0
	v_pk_add_f16 v13, v2, v4 neg_lo:[0,1] neg_hi:[0,1]
	v_pk_add_f16 v2, v2, v4
	s_delay_alu instid0(VALU_DEP_1) | instskip(SKIP_1) | instid1(VALU_DEP_2)
	v_bfi_b32 v4, 0xffff, v13, v2
	v_bfi_b32 v2, 0xffff, v2, v13
	v_pk_mul_f16 v4, v4, 0.5 op_sel_hi:[1,0]
	s_delay_alu instid0(VALU_DEP_2) | instskip(SKIP_1) | instid1(VALU_DEP_1)
	v_pk_mul_f16 v2, v2, 0.5 op_sel_hi:[1,0]
	s_wait_loadcnt 0x5
	v_pk_fma_f16 v13, v7, v4, v2 op_sel:[1,0,0]
	v_pk_mul_f16 v14, v7, v4 op_sel_hi:[0,1]
	v_pk_fma_f16 v15, v7, v4, v2 op_sel:[1,0,0] neg_lo:[1,0,0] neg_hi:[1,0,0]
	v_pk_fma_f16 v2, v7, v4, v2 op_sel:[1,0,0] neg_lo:[0,0,1] neg_hi:[0,0,1]
	s_delay_alu instid0(VALU_DEP_3) | instskip(SKIP_1) | instid1(VALU_DEP_4)
	v_pk_add_f16 v4, v13, v14 op_sel:[0,1] op_sel_hi:[1,0]
	v_pk_add_f16 v7, v13, v14 op_sel:[0,1] op_sel_hi:[1,0] neg_lo:[0,1] neg_hi:[0,1]
	v_pk_add_f16 v13, v15, v14 op_sel:[0,1] op_sel_hi:[1,0] neg_lo:[0,1] neg_hi:[0,1]
	s_delay_alu instid0(VALU_DEP_4) | instskip(NEXT) | instid1(VALU_DEP_3)
	v_pk_add_f16 v2, v2, v14 op_sel:[0,1] op_sel_hi:[1,0] neg_lo:[0,1] neg_hi:[0,1]
	v_bfi_b32 v4, 0xffff, v4, v7
	s_delay_alu instid0(VALU_DEP_2)
	v_bfi_b32 v2, 0xffff, v13, v2
	ds_store_b32 v43, v4 offset:3360
	ds_store_b32 v3, v2 offset:11040
	ds_load_b32 v2, v43 offset:3840
	ds_load_b32 v4, v3 offset:10560
	global_load_b32 v7, v[9:10], off offset:6240
	s_wait_dscnt 0x0
	v_pk_add_f16 v13, v2, v4 neg_lo:[0,1] neg_hi:[0,1]
	v_pk_add_f16 v2, v2, v4
	s_delay_alu instid0(VALU_DEP_1) | instskip(SKIP_1) | instid1(VALU_DEP_2)
	v_bfi_b32 v4, 0xffff, v13, v2
	v_bfi_b32 v2, 0xffff, v2, v13
	v_pk_mul_f16 v4, v4, 0.5 op_sel_hi:[1,0]
	s_delay_alu instid0(VALU_DEP_2) | instskip(SKIP_1) | instid1(VALU_DEP_2)
	v_pk_mul_f16 v2, v2, 0.5 op_sel_hi:[1,0]
	s_wait_loadcnt 0x5
	v_pk_mul_f16 v14, v6, v4 op_sel_hi:[0,1]
	s_delay_alu instid0(VALU_DEP_2) | instskip(SKIP_2) | instid1(VALU_DEP_3)
	v_pk_fma_f16 v13, v6, v4, v2 op_sel:[1,0,0]
	v_pk_fma_f16 v15, v6, v4, v2 op_sel:[1,0,0] neg_lo:[1,0,0] neg_hi:[1,0,0]
	v_pk_fma_f16 v2, v6, v4, v2 op_sel:[1,0,0] neg_lo:[0,0,1] neg_hi:[0,0,1]
	v_pk_add_f16 v4, v13, v14 op_sel:[0,1] op_sel_hi:[1,0]
	v_pk_add_f16 v6, v13, v14 op_sel:[0,1] op_sel_hi:[1,0] neg_lo:[0,1] neg_hi:[0,1]
	s_delay_alu instid0(VALU_DEP_4) | instskip(NEXT) | instid1(VALU_DEP_4)
	v_pk_add_f16 v13, v15, v14 op_sel:[0,1] op_sel_hi:[1,0] neg_lo:[0,1] neg_hi:[0,1]
	v_pk_add_f16 v2, v2, v14 op_sel:[0,1] op_sel_hi:[1,0] neg_lo:[0,1] neg_hi:[0,1]
	s_delay_alu instid0(VALU_DEP_3) | instskip(NEXT) | instid1(VALU_DEP_2)
	v_bfi_b32 v4, 0xffff, v4, v6
	v_bfi_b32 v2, 0xffff, v13, v2
	ds_store_b32 v43, v4 offset:3840
	ds_store_b32 v3, v2 offset:10560
	ds_load_b32 v2, v43 offset:4320
	ds_load_b32 v4, v3 offset:10080
	global_load_b32 v6, v[9:10], off offset:6720
	s_wait_dscnt 0x0
	v_pk_add_f16 v9, v2, v4 neg_lo:[0,1] neg_hi:[0,1]
	v_pk_add_f16 v2, v2, v4
	s_delay_alu instid0(VALU_DEP_1) | instskip(SKIP_1) | instid1(VALU_DEP_2)
	v_bfi_b32 v4, 0xffff, v9, v2
	v_bfi_b32 v2, 0xffff, v2, v9
	v_pk_mul_f16 v4, v4, 0.5 op_sel_hi:[1,0]
	s_delay_alu instid0(VALU_DEP_2) | instskip(SKIP_1) | instid1(VALU_DEP_2)
	v_pk_mul_f16 v2, v2, 0.5 op_sel_hi:[1,0]
	s_wait_loadcnt 0x5
	v_pk_mul_f16 v10, v11, v4 op_sel_hi:[0,1]
	s_delay_alu instid0(VALU_DEP_2) | instskip(SKIP_2) | instid1(VALU_DEP_3)
	v_pk_fma_f16 v9, v11, v4, v2 op_sel:[1,0,0]
	v_pk_fma_f16 v13, v11, v4, v2 op_sel:[1,0,0] neg_lo:[1,0,0] neg_hi:[1,0,0]
	v_pk_fma_f16 v2, v11, v4, v2 op_sel:[1,0,0] neg_lo:[0,0,1] neg_hi:[0,0,1]
	v_pk_add_f16 v4, v9, v10 op_sel:[0,1] op_sel_hi:[1,0]
	v_pk_add_f16 v9, v9, v10 op_sel:[0,1] op_sel_hi:[1,0] neg_lo:[0,1] neg_hi:[0,1]
	s_delay_alu instid0(VALU_DEP_4) | instskip(NEXT) | instid1(VALU_DEP_4)
	v_pk_add_f16 v11, v13, v10 op_sel:[0,1] op_sel_hi:[1,0] neg_lo:[0,1] neg_hi:[0,1]
	v_pk_add_f16 v2, v2, v10 op_sel:[0,1] op_sel_hi:[1,0] neg_lo:[0,1] neg_hi:[0,1]
	s_delay_alu instid0(VALU_DEP_3) | instskip(NEXT) | instid1(VALU_DEP_2)
	v_bfi_b32 v4, 0xffff, v4, v9
	v_bfi_b32 v2, 0xffff, v11, v2
	ds_store_b32 v43, v4 offset:4320
	ds_store_b32 v3, v2 offset:10080
	ds_load_b32 v2, v43 offset:4800
	ds_load_b32 v4, v3 offset:9600
	s_wait_dscnt 0x0
	v_pk_add_f16 v9, v2, v4 neg_lo:[0,1] neg_hi:[0,1]
	v_pk_add_f16 v2, v2, v4
	s_delay_alu instid0(VALU_DEP_1) | instskip(SKIP_1) | instid1(VALU_DEP_2)
	v_bfi_b32 v4, 0xffff, v9, v2
	v_bfi_b32 v2, 0xffff, v2, v9
	v_pk_mul_f16 v4, v4, 0.5 op_sel_hi:[1,0]
	s_delay_alu instid0(VALU_DEP_2) | instskip(SKIP_1) | instid1(VALU_DEP_2)
	v_pk_mul_f16 v2, v2, 0.5 op_sel_hi:[1,0]
	s_wait_loadcnt 0x4
	v_pk_mul_f16 v10, v12, v4 op_sel_hi:[0,1]
	s_delay_alu instid0(VALU_DEP_2) | instskip(SKIP_2) | instid1(VALU_DEP_3)
	v_pk_fma_f16 v9, v12, v4, v2 op_sel:[1,0,0]
	v_pk_fma_f16 v11, v12, v4, v2 op_sel:[1,0,0] neg_lo:[1,0,0] neg_hi:[1,0,0]
	v_pk_fma_f16 v2, v12, v4, v2 op_sel:[1,0,0] neg_lo:[0,0,1] neg_hi:[0,0,1]
	v_pk_add_f16 v4, v9, v10 op_sel:[0,1] op_sel_hi:[1,0]
	v_pk_add_f16 v9, v9, v10 op_sel:[0,1] op_sel_hi:[1,0] neg_lo:[0,1] neg_hi:[0,1]
	s_delay_alu instid0(VALU_DEP_4) | instskip(NEXT) | instid1(VALU_DEP_4)
	v_pk_add_f16 v11, v11, v10 op_sel:[0,1] op_sel_hi:[1,0] neg_lo:[0,1] neg_hi:[0,1]
	v_pk_add_f16 v2, v2, v10 op_sel:[0,1] op_sel_hi:[1,0] neg_lo:[0,1] neg_hi:[0,1]
	s_delay_alu instid0(VALU_DEP_3) | instskip(NEXT) | instid1(VALU_DEP_2)
	v_bfi_b32 v4, 0xffff, v4, v9
	v_bfi_b32 v2, 0xffff, v11, v2
	ds_store_b32 v43, v4 offset:4800
	ds_store_b32 v3, v2 offset:9600
	ds_load_b32 v2, v43 offset:5280
	ds_load_b32 v4, v3 offset:9120
	;; [unrolled: 27-line block ×4, first 2 shown]
	s_wait_dscnt 0x0
	v_pk_add_f16 v5, v2, v4 neg_lo:[0,1] neg_hi:[0,1]
	v_pk_add_f16 v2, v2, v4
	s_delay_alu instid0(VALU_DEP_1) | instskip(SKIP_1) | instid1(VALU_DEP_2)
	v_bfi_b32 v4, 0xffff, v5, v2
	v_bfi_b32 v2, 0xffff, v2, v5
	v_pk_mul_f16 v4, v4, 0.5 op_sel_hi:[1,0]
	s_delay_alu instid0(VALU_DEP_2) | instskip(SKIP_1) | instid1(VALU_DEP_1)
	v_pk_mul_f16 v2, v2, 0.5 op_sel_hi:[1,0]
	s_wait_loadcnt 0x1
	v_pk_fma_f16 v5, v7, v4, v2 op_sel:[1,0,0]
	v_pk_mul_f16 v8, v7, v4 op_sel_hi:[0,1]
	v_pk_fma_f16 v9, v7, v4, v2 op_sel:[1,0,0] neg_lo:[1,0,0] neg_hi:[1,0,0]
	v_pk_fma_f16 v2, v7, v4, v2 op_sel:[1,0,0] neg_lo:[0,0,1] neg_hi:[0,0,1]
	s_delay_alu instid0(VALU_DEP_3) | instskip(SKIP_1) | instid1(VALU_DEP_4)
	v_pk_add_f16 v4, v5, v8 op_sel:[0,1] op_sel_hi:[1,0]
	v_pk_add_f16 v5, v5, v8 op_sel:[0,1] op_sel_hi:[1,0] neg_lo:[0,1] neg_hi:[0,1]
	v_pk_add_f16 v7, v9, v8 op_sel:[0,1] op_sel_hi:[1,0] neg_lo:[0,1] neg_hi:[0,1]
	s_delay_alu instid0(VALU_DEP_4) | instskip(NEXT) | instid1(VALU_DEP_3)
	v_pk_add_f16 v2, v2, v8 op_sel:[0,1] op_sel_hi:[1,0] neg_lo:[0,1] neg_hi:[0,1]
	v_bfi_b32 v4, 0xffff, v4, v5
	s_delay_alu instid0(VALU_DEP_2)
	v_bfi_b32 v2, 0xffff, v7, v2
	ds_store_b32 v43, v4 offset:6240
	ds_store_b32 v3, v2 offset:8160
	ds_load_b32 v2, v43 offset:6720
	ds_load_b32 v4, v3 offset:7680
	s_wait_dscnt 0x0
	v_pk_add_f16 v5, v2, v4 neg_lo:[0,1] neg_hi:[0,1]
	v_pk_add_f16 v2, v2, v4
	s_delay_alu instid0(VALU_DEP_1) | instskip(SKIP_1) | instid1(VALU_DEP_2)
	v_bfi_b32 v4, 0xffff, v5, v2
	v_bfi_b32 v2, 0xffff, v2, v5
	v_pk_mul_f16 v4, v4, 0.5 op_sel_hi:[1,0]
	s_delay_alu instid0(VALU_DEP_2) | instskip(SKIP_1) | instid1(VALU_DEP_2)
	v_pk_mul_f16 v2, v2, 0.5 op_sel_hi:[1,0]
	s_wait_loadcnt 0x0
	v_pk_mul_f16 v7, v6, v4 op_sel_hi:[0,1]
	s_delay_alu instid0(VALU_DEP_2) | instskip(SKIP_2) | instid1(VALU_DEP_3)
	v_pk_fma_f16 v5, v6, v4, v2 op_sel:[1,0,0]
	v_pk_fma_f16 v8, v6, v4, v2 op_sel:[1,0,0] neg_lo:[1,0,0] neg_hi:[1,0,0]
	v_pk_fma_f16 v2, v6, v4, v2 op_sel:[1,0,0] neg_lo:[0,0,1] neg_hi:[0,0,1]
	v_pk_add_f16 v4, v5, v7 op_sel:[0,1] op_sel_hi:[1,0]
	v_pk_add_f16 v5, v5, v7 op_sel:[0,1] op_sel_hi:[1,0] neg_lo:[0,1] neg_hi:[0,1]
	s_delay_alu instid0(VALU_DEP_4) | instskip(NEXT) | instid1(VALU_DEP_4)
	v_pk_add_f16 v6, v8, v7 op_sel:[0,1] op_sel_hi:[1,0] neg_lo:[0,1] neg_hi:[0,1]
	v_pk_add_f16 v2, v2, v7 op_sel:[0,1] op_sel_hi:[1,0] neg_lo:[0,1] neg_hi:[0,1]
	s_delay_alu instid0(VALU_DEP_3) | instskip(NEXT) | instid1(VALU_DEP_2)
	v_bfi_b32 v4, 0xffff, v4, v5
	v_bfi_b32 v2, 0xffff, v6, v2
	ds_store_b32 v43, v4 offset:6720
	ds_store_b32 v3, v2 offset:7680
	global_wb scope:SCOPE_SE
	s_wait_dscnt 0x0
	s_barrier_signal -1
	s_barrier_wait -1
	global_inv scope:SCOPE_SE
	s_and_saveexec_b32 s0, vcc_lo
	s_cbranch_execz .LBB0_20
; %bb.18:
	v_add_nc_u32_e32 v6, 0x200, v43
	v_add_nc_u32_e32 v8, 0x600, v43
	;; [unrolled: 1-line block ×3, first 2 shown]
	ds_load_2addr_b32 v[4:5], v43 offset1:120
	v_add_nc_u32_e32 v12, 0xe00, v43
	v_add_nc_u32_e32 v14, 0x1200, v43
	ds_load_2addr_b32 v[6:7], v6 offset0:112 offset1:232
	v_add_nc_u32_e32 v17, 0x1600, v43
	v_add_co_u32 v2, vcc_lo, s8, v18
	ds_load_2addr_b32 v[8:9], v8 offset0:96 offset1:216
	ds_load_2addr_b32 v[10:11], v10 offset0:80 offset1:200
	;; [unrolled: 1-line block ×5, first 2 shown]
	s_wait_alu 0xfffd
	v_add_co_ci_u32_e32 v3, vcc_lo, s9, v19, vcc_lo
	v_add_co_u32 v0, vcc_lo, v2, v0
	v_add_nc_u32_e32 v19, 0x1a00, v43
	s_wait_alu 0xfffd
	s_delay_alu instid0(VALU_DEP_3)
	v_add_co_ci_u32_e32 v1, vcc_lo, v3, v1, vcc_lo
	v_add_nc_u32_e32 v21, 0x1c00, v43
	v_add_nc_u32_e32 v29, 0x2c00, v43
	;; [unrolled: 1-line block ×7, first 2 shown]
	ds_load_2addr_b32 v[19:20], v19 offset0:16 offset1:136
	ds_load_2addr_b32 v[21:22], v21 offset0:128 offset1:248
	;; [unrolled: 1-line block ×5, first 2 shown]
	s_wait_dscnt 0xb
	s_clause 0x1
	global_store_b32 v[0:1], v4, off
	global_store_b32 v[0:1], v5, off offset:480
	s_wait_dscnt 0xa
	s_clause 0x1
	global_store_b32 v[0:1], v6, off offset:960
	global_store_b32 v[0:1], v7, off offset:1440
	s_wait_dscnt 0x9
	s_clause 0x1
	global_store_b32 v[0:1], v8, off offset:1920
	;; [unrolled: 4-line block ×3, first 2 shown]
	global_store_b32 v[0:1], v11, off offset:3360
	ds_load_2addr_b32 v[4:5], v29 offset0:64 offset1:184
	ds_load_2addr_b32 v[6:7], v30 offset0:48 offset1:168
	;; [unrolled: 1-line block ×3, first 2 shown]
	v_cmp_eq_u32_e32 vcc_lo, 0x77, v16
	s_wait_dscnt 0xa
	s_clause 0x1
	global_store_b32 v[0:1], v12, off offset:3840
	global_store_b32 v[0:1], v13, off offset:4320
	s_wait_dscnt 0x9
	s_clause 0x1
	global_store_b32 v[0:1], v14, off offset:4800
	global_store_b32 v[0:1], v15, off offset:5280
	;; [unrolled: 4-line block ×11, first 2 shown]
	s_and_b32 exec_lo, exec_lo, vcc_lo
	s_cbranch_execz .LBB0_20
; %bb.19:
	v_mov_b32_e32 v0, 0
	ds_load_b32 v0, v0 offset:14400
	s_wait_dscnt 0x0
	global_store_b32 v[2:3], v0, off offset:14400
.LBB0_20:
	s_nop 0
	s_sendmsg sendmsg(MSG_DEALLOC_VGPRS)
	s_endpgm
	.section	.rodata,"a",@progbits
	.p2align	6, 0x0
	.amdhsa_kernel fft_rtc_fwd_len3600_factors_10_10_6_6_wgs_120_tpt_120_halfLds_half_ip_CI_unitstride_sbrr_R2C_dirReg
		.amdhsa_group_segment_fixed_size 0
		.amdhsa_private_segment_fixed_size 0
		.amdhsa_kernarg_size 88
		.amdhsa_user_sgpr_count 2
		.amdhsa_user_sgpr_dispatch_ptr 0
		.amdhsa_user_sgpr_queue_ptr 0
		.amdhsa_user_sgpr_kernarg_segment_ptr 1
		.amdhsa_user_sgpr_dispatch_id 0
		.amdhsa_user_sgpr_private_segment_size 0
		.amdhsa_wavefront_size32 1
		.amdhsa_uses_dynamic_stack 0
		.amdhsa_enable_private_segment 0
		.amdhsa_system_sgpr_workgroup_id_x 1
		.amdhsa_system_sgpr_workgroup_id_y 0
		.amdhsa_system_sgpr_workgroup_id_z 0
		.amdhsa_system_sgpr_workgroup_info 0
		.amdhsa_system_vgpr_workitem_id 0
		.amdhsa_next_free_vgpr 97
		.amdhsa_next_free_sgpr 32
		.amdhsa_reserve_vcc 1
		.amdhsa_float_round_mode_32 0
		.amdhsa_float_round_mode_16_64 0
		.amdhsa_float_denorm_mode_32 3
		.amdhsa_float_denorm_mode_16_64 3
		.amdhsa_fp16_overflow 0
		.amdhsa_workgroup_processor_mode 1
		.amdhsa_memory_ordered 1
		.amdhsa_forward_progress 0
		.amdhsa_round_robin_scheduling 0
		.amdhsa_exception_fp_ieee_invalid_op 0
		.amdhsa_exception_fp_denorm_src 0
		.amdhsa_exception_fp_ieee_div_zero 0
		.amdhsa_exception_fp_ieee_overflow 0
		.amdhsa_exception_fp_ieee_underflow 0
		.amdhsa_exception_fp_ieee_inexact 0
		.amdhsa_exception_int_div_zero 0
	.end_amdhsa_kernel
	.text
.Lfunc_end0:
	.size	fft_rtc_fwd_len3600_factors_10_10_6_6_wgs_120_tpt_120_halfLds_half_ip_CI_unitstride_sbrr_R2C_dirReg, .Lfunc_end0-fft_rtc_fwd_len3600_factors_10_10_6_6_wgs_120_tpt_120_halfLds_half_ip_CI_unitstride_sbrr_R2C_dirReg
                                        ; -- End function
	.section	.AMDGPU.csdata,"",@progbits
; Kernel info:
; codeLenInByte = 20968
; NumSgprs: 34
; NumVgprs: 97
; ScratchSize: 0
; MemoryBound: 0
; FloatMode: 240
; IeeeMode: 1
; LDSByteSize: 0 bytes/workgroup (compile time only)
; SGPRBlocks: 4
; VGPRBlocks: 12
; NumSGPRsForWavesPerEU: 34
; NumVGPRsForWavesPerEU: 97
; Occupancy: 12
; WaveLimiterHint : 1
; COMPUTE_PGM_RSRC2:SCRATCH_EN: 0
; COMPUTE_PGM_RSRC2:USER_SGPR: 2
; COMPUTE_PGM_RSRC2:TRAP_HANDLER: 0
; COMPUTE_PGM_RSRC2:TGID_X_EN: 1
; COMPUTE_PGM_RSRC2:TGID_Y_EN: 0
; COMPUTE_PGM_RSRC2:TGID_Z_EN: 0
; COMPUTE_PGM_RSRC2:TIDIG_COMP_CNT: 0
	.text
	.p2alignl 7, 3214868480
	.fill 96, 4, 3214868480
	.type	__hip_cuid_946cea7ca8a06309,@object ; @__hip_cuid_946cea7ca8a06309
	.section	.bss,"aw",@nobits
	.globl	__hip_cuid_946cea7ca8a06309
__hip_cuid_946cea7ca8a06309:
	.byte	0                               ; 0x0
	.size	__hip_cuid_946cea7ca8a06309, 1

	.ident	"AMD clang version 19.0.0git (https://github.com/RadeonOpenCompute/llvm-project roc-6.4.0 25133 c7fe45cf4b819c5991fe208aaa96edf142730f1d)"
	.section	".note.GNU-stack","",@progbits
	.addrsig
	.addrsig_sym __hip_cuid_946cea7ca8a06309
	.amdgpu_metadata
---
amdhsa.kernels:
  - .args:
      - .actual_access:  read_only
        .address_space:  global
        .offset:         0
        .size:           8
        .value_kind:     global_buffer
      - .offset:         8
        .size:           8
        .value_kind:     by_value
      - .actual_access:  read_only
        .address_space:  global
        .offset:         16
        .size:           8
        .value_kind:     global_buffer
      - .actual_access:  read_only
        .address_space:  global
        .offset:         24
        .size:           8
        .value_kind:     global_buffer
      - .offset:         32
        .size:           8
        .value_kind:     by_value
      - .actual_access:  read_only
        .address_space:  global
        .offset:         40
        .size:           8
        .value_kind:     global_buffer
      - .actual_access:  read_only
        .address_space:  global
        .offset:         48
        .size:           8
        .value_kind:     global_buffer
      - .offset:         56
        .size:           4
        .value_kind:     by_value
      - .actual_access:  read_only
        .address_space:  global
        .offset:         64
        .size:           8
        .value_kind:     global_buffer
      - .actual_access:  read_only
        .address_space:  global
        .offset:         72
        .size:           8
        .value_kind:     global_buffer
      - .address_space:  global
        .offset:         80
        .size:           8
        .value_kind:     global_buffer
    .group_segment_fixed_size: 0
    .kernarg_segment_align: 8
    .kernarg_segment_size: 88
    .language:       OpenCL C
    .language_version:
      - 2
      - 0
    .max_flat_workgroup_size: 120
    .name:           fft_rtc_fwd_len3600_factors_10_10_6_6_wgs_120_tpt_120_halfLds_half_ip_CI_unitstride_sbrr_R2C_dirReg
    .private_segment_fixed_size: 0
    .sgpr_count:     34
    .sgpr_spill_count: 0
    .symbol:         fft_rtc_fwd_len3600_factors_10_10_6_6_wgs_120_tpt_120_halfLds_half_ip_CI_unitstride_sbrr_R2C_dirReg.kd
    .uniform_work_group_size: 1
    .uses_dynamic_stack: false
    .vgpr_count:     97
    .vgpr_spill_count: 0
    .wavefront_size: 32
    .workgroup_processor_mode: 1
amdhsa.target:   amdgcn-amd-amdhsa--gfx1201
amdhsa.version:
  - 1
  - 2
...

	.end_amdgpu_metadata
